;; amdgpu-corpus repo=ROCm/rocFFT kind=compiled arch=gfx906 opt=O3
	.text
	.amdgcn_target "amdgcn-amd-amdhsa--gfx906"
	.amdhsa_code_object_version 6
	.protected	bluestein_single_fwd_len231_dim1_half_op_CI_CI ; -- Begin function bluestein_single_fwd_len231_dim1_half_op_CI_CI
	.globl	bluestein_single_fwd_len231_dim1_half_op_CI_CI
	.p2align	8
	.type	bluestein_single_fwd_len231_dim1_half_op_CI_CI,@function
bluestein_single_fwd_len231_dim1_half_op_CI_CI: ; @bluestein_single_fwd_len231_dim1_half_op_CI_CI
; %bb.0:
	v_mul_u32_u24_e32 v1, 0x7c2, v0
	s_load_dwordx4 s[0:3], s[4:5], 0x28
	v_lshrrev_b32_e32 v1, 16, v1
	v_mad_u64_u32 v[4:5], s[6:7], s6, 7, v[1:2]
	v_mov_b32_e32 v5, 0
	s_waitcnt lgkmcnt(0)
	v_cmp_gt_u64_e32 vcc, s[0:1], v[4:5]
	s_and_saveexec_b64 s[0:1], vcc
	s_cbranch_execz .LBB0_23
; %bb.1:
	s_mov_b32 s0, 0x24924925
	v_mul_hi_u32 v2, v4, s0
	s_load_dwordx2 s[6:7], s[4:5], 0x0
	s_load_dwordx2 s[12:13], s[4:5], 0x38
	v_mul_lo_u16_e32 v1, 33, v1
	v_sub_u16_e32 v25, v0, v1
	v_sub_u32_e32 v3, v4, v2
	v_lshrrev_b32_e32 v3, 1, v3
	v_add_u32_e32 v2, v3, v2
	v_lshrrev_b32_e32 v2, 2, v2
	v_mul_lo_u32 v2, v2, 7
	v_cmp_gt_u16_e64 s[0:1], 21, v25
	v_lshlrev_b32_e32 v24, 2, v25
	v_sub_u32_e32 v0, v4, v2
	v_mul_u32_u24_e32 v26, 0xe7, v0
	v_lshlrev_b32_e32 v27, 2, v26
	s_and_saveexec_b64 s[8:9], s[0:1]
	s_cbranch_execz .LBB0_3
; %bb.2:
	s_load_dwordx2 s[10:11], s[4:5], 0x18
	s_waitcnt lgkmcnt(0)
	s_load_dwordx4 s[16:19], s[10:11], 0x0
	s_waitcnt lgkmcnt(0)
	v_mad_u64_u32 v[0:1], s[10:11], s18, v4, 0
	v_mad_u64_u32 v[2:3], s[10:11], s16, v25, 0
	;; [unrolled: 1-line block ×4, first 2 shown]
	v_mov_b32_e32 v1, v5
	v_lshlrev_b64 v[0:1], 2, v[0:1]
	v_mov_b32_e32 v3, v6
	v_mov_b32_e32 v7, s3
	v_lshlrev_b64 v[2:3], 2, v[2:3]
	v_add_co_u32_e32 v0, vcc, s2, v0
	v_addc_co_u32_e32 v1, vcc, v7, v1, vcc
	v_add_co_u32_e32 v0, vcc, v0, v2
	s_mul_i32 s2, s17, 0x54
	s_mul_hi_u32 s3, s16, 0x54
	v_addc_co_u32_e32 v1, vcc, v1, v3, vcc
	s_add_i32 s2, s3, s2
	s_mul_i32 s3, s16, 0x54
	global_load_dword v2, v[0:1], off
	global_load_dword v3, v24, s[6:7]
	v_mov_b32_e32 v5, s2
	v_add_co_u32_e32 v0, vcc, s3, v0
	v_addc_co_u32_e32 v1, vcc, v1, v5, vcc
	global_load_dword v5, v[0:1], off
	global_load_dword v6, v24, s[6:7] offset:84
	v_mov_b32_e32 v7, s2
	v_add_co_u32_e32 v0, vcc, s3, v0
	v_addc_co_u32_e32 v1, vcc, v1, v7, vcc
	global_load_dword v7, v[0:1], off
	global_load_dword v8, v24, s[6:7] offset:168
	;; [unrolled: 5-line block ×4, first 2 shown]
	v_mov_b32_e32 v13, s2
	v_add_co_u32_e32 v0, vcc, s3, v0
	v_addc_co_u32_e32 v1, vcc, v1, v13, vcc
	global_load_dword v13, v24, s[6:7] offset:420
	global_load_dword v14, v24, s[6:7] offset:504
	;; [unrolled: 1-line block ×3, first 2 shown]
	global_load_dword v16, v[0:1], off
	v_mov_b32_e32 v17, s2
	v_add_co_u32_e32 v0, vcc, s3, v0
	v_addc_co_u32_e32 v1, vcc, v1, v17, vcc
	global_load_dword v17, v[0:1], off
	v_mov_b32_e32 v18, s2
	v_add_co_u32_e32 v0, vcc, s3, v0
	v_addc_co_u32_e32 v1, vcc, v1, v18, vcc
	;; [unrolled: 4-line block ×3, first 2 shown]
	global_load_dword v19, v[0:1], off
	global_load_dword v21, v24, s[6:7] offset:672
	v_mov_b32_e32 v20, s2
	v_add_co_u32_e32 v0, vcc, s3, v0
	v_addc_co_u32_e32 v1, vcc, v1, v20, vcc
	global_load_dword v22, v[0:1], off
	global_load_dword v23, v24, s[6:7] offset:756
	v_add_co_u32_e32 v0, vcc, s3, v0
	v_addc_co_u32_e32 v1, vcc, v1, v20, vcc
	global_load_dword v20, v[0:1], off
	global_load_dword v28, v24, s[6:7] offset:840
	s_waitcnt vmcnt(21)
	v_lshrrev_b32_e32 v0, 16, v2
	s_waitcnt vmcnt(20)
	v_mul_f16_sdwa v1, v3, v2 dst_sel:DWORD dst_unused:UNUSED_PAD src0_sel:WORD_1 src1_sel:DWORD
	v_fma_f16 v1, v3, v0, -v1
	v_mul_f16_sdwa v0, v3, v0 dst_sel:DWORD dst_unused:UNUSED_PAD src0_sel:WORD_1 src1_sel:DWORD
	v_fma_f16 v0, v3, v2, v0
	v_pack_b32_f16 v0, v0, v1
	v_lshl_add_u32 v1, v25, 2, v27
	s_waitcnt vmcnt(19)
	v_lshrrev_b32_e32 v29, 16, v5
	ds_write_b32 v1, v0
	s_waitcnt vmcnt(18)
	v_mul_f16_sdwa v2, v6, v5 dst_sel:DWORD dst_unused:UNUSED_PAD src0_sel:WORD_1 src1_sel:DWORD
	v_mul_f16_sdwa v3, v6, v29 dst_sel:DWORD dst_unused:UNUSED_PAD src0_sel:WORD_1 src1_sel:DWORD
	v_fma_f16 v2, v6, v29, -v2
	s_waitcnt vmcnt(17)
	v_lshrrev_b32_e32 v0, 16, v7
	s_waitcnt vmcnt(16)
	v_mul_f16_sdwa v1, v8, v7 dst_sel:DWORD dst_unused:UNUSED_PAD src0_sel:WORD_1 src1_sel:DWORD
	v_fma_f16 v1, v8, v0, -v1
	v_mul_f16_sdwa v0, v8, v0 dst_sel:DWORD dst_unused:UNUSED_PAD src0_sel:WORD_1 src1_sel:DWORD
	v_fma_f16 v3, v6, v5, v3
	v_fma_f16 v0, v8, v7, v0
	v_add_u32_e32 v7, v27, v24
	v_pack_b32_f16 v2, v3, v2
	v_pack_b32_f16 v0, v0, v1
	s_waitcnt vmcnt(15)
	v_lshrrev_b32_e32 v5, 16, v9
	s_waitcnt vmcnt(14)
	v_mul_f16_sdwa v6, v10, v9 dst_sel:DWORD dst_unused:UNUSED_PAD src0_sel:WORD_1 src1_sel:DWORD
	ds_write2_b32 v7, v2, v0 offset0:21 offset1:42
	s_waitcnt vmcnt(13)
	v_lshrrev_b32_e32 v0, 16, v11
	s_waitcnt vmcnt(12)
	v_mul_f16_sdwa v1, v12, v11 dst_sel:DWORD dst_unused:UNUSED_PAD src0_sel:WORD_1 src1_sel:DWORD
	v_fma_f16 v6, v10, v5, -v6
	v_mul_f16_sdwa v5, v10, v5 dst_sel:DWORD dst_unused:UNUSED_PAD src0_sel:WORD_1 src1_sel:DWORD
	v_fma_f16 v1, v12, v0, -v1
	v_mul_f16_sdwa v0, v12, v0 dst_sel:DWORD dst_unused:UNUSED_PAD src0_sel:WORD_1 src1_sel:DWORD
	v_fma_f16 v5, v10, v9, v5
	v_fma_f16 v0, v12, v11, v0
	v_pack_b32_f16 v2, v5, v6
	v_pack_b32_f16 v0, v0, v1
	ds_write2_b32 v7, v2, v0 offset0:63 offset1:84
	s_waitcnt vmcnt(8)
	v_lshrrev_b32_e32 v0, 16, v16
	v_mul_f16_sdwa v1, v13, v0 dst_sel:DWORD dst_unused:UNUSED_PAD src0_sel:WORD_1 src1_sel:DWORD
	v_mul_f16_sdwa v2, v13, v16 dst_sel:DWORD dst_unused:UNUSED_PAD src0_sel:WORD_1 src1_sel:DWORD
	v_fma_f16 v1, v13, v16, v1
	v_fma_f16 v0, v13, v0, -v2
	v_pack_b32_f16 v0, v1, v0
	s_waitcnt vmcnt(7)
	v_lshrrev_b32_e32 v1, 16, v17
	v_mul_f16_sdwa v2, v14, v1 dst_sel:DWORD dst_unused:UNUSED_PAD src0_sel:WORD_1 src1_sel:DWORD
	v_mul_f16_sdwa v3, v14, v17 dst_sel:DWORD dst_unused:UNUSED_PAD src0_sel:WORD_1 src1_sel:DWORD
	v_fma_f16 v2, v14, v17, v2
	v_fma_f16 v1, v14, v1, -v3
	v_pack_b32_f16 v1, v2, v1
	ds_write2_b32 v7, v0, v1 offset0:105 offset1:126
	s_waitcnt vmcnt(6)
	v_lshrrev_b32_e32 v0, 16, v18
	v_mul_f16_sdwa v1, v15, v0 dst_sel:DWORD dst_unused:UNUSED_PAD src0_sel:WORD_1 src1_sel:DWORD
	v_mul_f16_sdwa v2, v15, v18 dst_sel:DWORD dst_unused:UNUSED_PAD src0_sel:WORD_1 src1_sel:DWORD
	v_fma_f16 v1, v15, v18, v1
	v_fma_f16 v0, v15, v0, -v2
	v_pack_b32_f16 v0, v1, v0
	s_waitcnt vmcnt(5)
	v_lshrrev_b32_e32 v1, 16, v19
	s_waitcnt vmcnt(4)
	v_mul_f16_sdwa v2, v21, v1 dst_sel:DWORD dst_unused:UNUSED_PAD src0_sel:WORD_1 src1_sel:DWORD
	v_mul_f16_sdwa v3, v21, v19 dst_sel:DWORD dst_unused:UNUSED_PAD src0_sel:WORD_1 src1_sel:DWORD
	v_fma_f16 v2, v21, v19, v2
	v_fma_f16 v1, v21, v1, -v3
	v_pack_b32_f16 v1, v2, v1
	ds_write2_b32 v7, v0, v1 offset0:147 offset1:168
	s_waitcnt vmcnt(3)
	v_lshrrev_b32_e32 v0, 16, v22
	s_waitcnt vmcnt(2)
	v_mul_f16_sdwa v1, v23, v0 dst_sel:DWORD dst_unused:UNUSED_PAD src0_sel:WORD_1 src1_sel:DWORD
	v_mul_f16_sdwa v2, v23, v22 dst_sel:DWORD dst_unused:UNUSED_PAD src0_sel:WORD_1 src1_sel:DWORD
	v_fma_f16 v1, v23, v22, v1
	v_fma_f16 v0, v23, v0, -v2
	v_pack_b32_f16 v0, v1, v0
	s_waitcnt vmcnt(1)
	v_lshrrev_b32_e32 v1, 16, v20
	s_waitcnt vmcnt(0)
	v_mul_f16_sdwa v2, v28, v1 dst_sel:DWORD dst_unused:UNUSED_PAD src0_sel:WORD_1 src1_sel:DWORD
	v_mul_f16_sdwa v3, v28, v20 dst_sel:DWORD dst_unused:UNUSED_PAD src0_sel:WORD_1 src1_sel:DWORD
	v_fma_f16 v2, v28, v20, v2
	v_fma_f16 v1, v28, v1, -v3
	v_pack_b32_f16 v1, v2, v1
	ds_write2_b32 v7, v0, v1 offset0:189 offset1:210
.LBB0_3:
	s_or_b64 exec, exec, s[8:9]
	s_load_dwordx2 s[2:3], s[4:5], 0x20
	s_load_dwordx2 s[14:15], s[4:5], 0x8
	v_mov_b32_e32 v0, 0
	s_waitcnt lgkmcnt(0)
	s_barrier
	s_waitcnt lgkmcnt(0)
                                        ; implicit-def: $vgpr13
                                        ; implicit-def: $vgpr3
                                        ; implicit-def: $vgpr8
                                        ; implicit-def: $vgpr10
                                        ; implicit-def: $vgpr12
	s_and_saveexec_b64 s[4:5], s[0:1]
	s_cbranch_execz .LBB0_5
; %bb.4:
	v_lshl_add_u32 v5, v26, 2, v24
	ds_read2_b32 v[0:1], v5 offset1:21
	ds_read2_b32 v[11:12], v5 offset0:42 offset1:63
	ds_read2_b32 v[9:10], v5 offset0:84 offset1:105
	;; [unrolled: 1-line block ×4, first 2 shown]
	ds_read_b32 v13, v5 offset:840
.LBB0_5:
	s_or_b64 exec, exec, s[4:5]
	s_waitcnt lgkmcnt(0)
	v_pk_add_f16 v15, v1, v13 neg_lo:[0,1] neg_hi:[0,1]
	s_mov_b32 s4, 0xb853
	v_pk_add_f16 v14, v13, v1
	s_movk_i32 s8, 0x3abb
	v_mul_f16_sdwa v18, v15, s4 dst_sel:DWORD dst_unused:UNUSED_PAD src0_sel:WORD_1 src1_sel:DWORD
	s_mov_b32 s5, 0xbb47
	v_pk_add_f16 v17, v11, v3 neg_lo:[0,1] neg_hi:[0,1]
	v_fma_f16 v5, v14, s8, v18
	s_movk_i32 s9, 0x36a6
	v_pk_add_f16 v16, v3, v11
	v_mul_f16_sdwa v19, v17, s5 dst_sel:DWORD dst_unused:UNUSED_PAD src0_sel:WORD_1 src1_sel:DWORD
	v_add_f16_e32 v5, v5, v0
	v_fma_f16 v6, v16, s9, v19
	v_lshrrev_b32_e32 v47, 16, v14
	v_mul_f16_e32 v22, 0xbb47, v15
	v_add_f16_e32 v5, v6, v5
	v_fma_f16 v6, v47, s9, -v22
	s_mov_b32 s11, 0xb93d
	v_lshrrev_b32_e32 v45, 16, v16
	v_mul_f16_e32 v30, 0xba0c, v17
	s_mov_b32 s16, 0xbbeb
	v_add_f16_sdwa v6, v6, v0 dst_sel:DWORD dst_unused:UNUSED_PAD src0_sel:DWORD src1_sel:WORD_1
	v_fma_f16 v20, v45, s11, -v30
	s_mov_b32 s10, 0xb08e
	v_mul_f16_sdwa v37, v15, s16 dst_sel:DWORD dst_unused:UNUSED_PAD src0_sel:WORD_1 src1_sel:DWORD
	s_movk_i32 s5, 0x3482
	v_add_f16_e32 v6, v20, v6
	v_fma_f16 v20, v14, s10, v37
	s_mov_b32 s17, 0xbbad
	v_mul_f16_sdwa v39, v17, s5 dst_sel:DWORD dst_unused:UNUSED_PAD src0_sel:WORD_1 src1_sel:DWORD
	v_add_f16_e32 v20, v20, v0
	v_fma_f16 v21, v16, s17, v39
	v_mul_f16_e32 v43, 0xbbeb, v15
	v_add_f16_e32 v23, v21, v20
	v_fma_f16 v20, v47, s10, -v43
	v_mul_f16_e32 v44, 0x3482, v17
	s_mov_b32 s18, 0xba0c
	v_add_f16_sdwa v20, v20, v0 dst_sel:DWORD dst_unused:UNUSED_PAD src0_sel:DWORD src1_sel:WORD_1
	v_fma_f16 v21, v45, s17, -v44
	v_mul_f16_sdwa v50, v15, s18 dst_sel:DWORD dst_unused:UNUSED_PAD src0_sel:WORD_1 src1_sel:DWORD
	s_movk_i32 s5, 0x3beb
	v_add_f16_e32 v28, v21, v20
	v_fma_f16 v20, v14, s11, v50
	v_mul_f16_sdwa v52, v17, s5 dst_sel:DWORD dst_unused:UNUSED_PAD src0_sel:WORD_1 src1_sel:DWORD
	v_add_f16_e32 v20, v20, v0
	v_fma_f16 v21, v16, s10, v52
	v_mul_f16_e32 v59, 0xba0c, v15
	v_add_f16_e32 v29, v21, v20
	v_fma_f16 v20, v47, s11, -v59
	v_mul_f16_e32 v60, 0x3beb, v17
	v_add_f16_sdwa v20, v20, v0 dst_sel:DWORD dst_unused:UNUSED_PAD src0_sel:DWORD src1_sel:WORD_1
	v_fma_f16 v21, v45, s10, -v60
	v_add_f16_e32 v31, v21, v20
	v_pk_add_f16 v21, v12, v2 neg_lo:[0,1] neg_hi:[0,1]
	v_pk_add_f16 v20, v2, v12
	v_mul_f16_sdwa v38, v21, s16 dst_sel:DWORD dst_unused:UNUSED_PAD src0_sel:WORD_1 src1_sel:DWORD
	v_fma_f16 v32, v20, s10, v38
	v_lshrrev_b32_e32 v54, 16, v20
	v_mul_f16_e32 v42, 0x3482, v21
	s_movk_i32 s19, 0x3b47
	v_add_f16_e32 v5, v32, v5
	v_fma_f16 v32, v54, s17, -v42
	v_mul_f16_sdwa v48, v21, s19 dst_sel:DWORD dst_unused:UNUSED_PAD src0_sel:WORD_1 src1_sel:DWORD
	v_add_f16_e32 v6, v32, v6
	v_fma_f16 v32, v20, s9, v48
	v_mul_f16_e32 v53, 0x3b47, v21
	v_add_f16_e32 v23, v32, v23
	v_fma_f16 v32, v54, s9, -v53
	v_mul_f16_sdwa v58, v21, s4 dst_sel:DWORD dst_unused:UNUSED_PAD src0_sel:WORD_1 src1_sel:DWORD
	v_add_f16_e32 v28, v32, v28
	v_fma_f16 v32, v20, s8, v58
	v_mul_f16_e32 v67, 0xb853, v21
	v_pk_add_f16 v36, v9, v8 neg_lo:[0,1] neg_hi:[0,1]
	v_add_f16_e32 v29, v32, v29
	v_fma_f16 v32, v54, s8, -v67
	v_pk_add_f16 v34, v8, v9
	v_mul_f16_sdwa v46, v36, s18 dst_sel:DWORD dst_unused:UNUSED_PAD src0_sel:WORD_1 src1_sel:DWORD
	v_add_f16_e32 v31, v32, v31
	v_fma_f16 v32, v34, s11, v46
	v_lshrrev_b32_e32 v57, 16, v34
	v_mul_f16_e32 v49, 0x3beb, v36
	v_add_f16_e32 v5, v32, v5
	v_fma_f16 v32, v57, s10, -v49
	v_mul_f16_sdwa v55, v36, s4 dst_sel:DWORD dst_unused:UNUSED_PAD src0_sel:WORD_1 src1_sel:DWORD
	v_add_f16_e32 v6, v32, v6
	v_fma_f16 v32, v34, s8, v55
	v_mul_f16_e32 v56, 0xb853, v36
	s_mov_b32 s20, 0xb482
	v_add_f16_e32 v23, v32, v23
	v_fma_f16 v32, v57, s8, -v56
	v_mul_f16_sdwa v65, v36, s20 dst_sel:DWORD dst_unused:UNUSED_PAD src0_sel:WORD_1 src1_sel:DWORD
	v_add_f16_e32 v28, v32, v28
	v_fma_f16 v32, v34, s17, v65
	v_mul_f16_e32 v77, 0xb482, v36
	v_pk_add_f16 v41, v10, v7 neg_lo:[0,1] neg_hi:[0,1]
	v_add_f16_e32 v80, v32, v29
	v_fma_f16 v29, v57, s17, -v77
	v_pk_add_f16 v40, v7, v10
	v_mul_f16_sdwa v51, v41, s20 dst_sel:DWORD dst_unused:UNUSED_PAD src0_sel:WORD_1 src1_sel:DWORD
	v_add_f16_e32 v32, v29, v31
	v_fma_f16 v29, v40, s17, v51
	v_lshrrev_b32_e32 v63, 16, v40
	v_mul_f16_e32 v61, 0x3853, v41
	v_add_f16_e32 v29, v29, v5
	v_fma_f16 v5, v63, s8, -v61
	v_mul_f16_e32 v72, 0xba0c, v41
	v_add_f16_e32 v31, v5, v6
	v_fma_f16 v6, v63, s11, -v72
	;; [unrolled: 3-line block ×3, first 2 shown]
	s_mov_b32 s4, 0x3abb36a6
	v_add_f16_e32 v35, v6, v32
	s_mov_b32 s5, 0xbb47b853
	v_pk_mul_f16 v6, v14, s4
	s_mov_b32 s4, 0x36a6b93d
	v_pk_fma_f16 v64, v15, s5, v6 op_sel:[0,0,1] op_sel_hi:[1,1,0] neg_lo:[1,0,0] neg_hi:[1,0,0]
	v_pk_fma_f16 v66, v15, s5, v6 op_sel:[0,0,1] op_sel_hi:[1,1,0]
	s_mov_b32 s5, 0xba0cbb47
	v_pk_mul_f16 v6, v16, s4
	s_mov_b32 s4, 0xb08ebbad
	v_pk_fma_f16 v68, v17, s5, v6 op_sel:[0,0,1] op_sel_hi:[1,1,0] neg_lo:[1,0,0] neg_hi:[1,0,0]
	v_pk_fma_f16 v69, v17, s5, v6 op_sel:[0,0,1] op_sel_hi:[1,1,0]
	;; [unrolled: 5-line block ×3, first 2 shown]
	s_mov_b32 s5, 0x3bebba0c
	v_pk_mul_f16 v6, v34, s4
	v_mul_f16_sdwa v62, v41, s18 dst_sel:DWORD dst_unused:UNUSED_PAD src0_sel:WORD_1 src1_sel:DWORD
	v_pk_fma_f16 v73, v36, s5, v6 op_sel:[0,0,1] op_sel_hi:[1,1,0] neg_lo:[1,0,0] neg_hi:[1,0,0]
	v_pk_fma_f16 v74, v36, s5, v6 op_sel:[0,0,1] op_sel_hi:[1,1,0]
	v_add_f16_sdwa v6, v64, v0 dst_sel:DWORD dst_unused:UNUSED_PAD src0_sel:DWORD src1_sel:WORD_1
	v_fma_f16 v5, v40, s11, v62
	s_mov_b32 s4, 0xbbad3abb
	v_add_f16_e32 v6, v68, v6
	v_add_f16_e32 v5, v5, v23
	s_mov_b32 s5, 0x3853b482
	v_add_f16_e32 v6, v70, v6
	v_pk_mul_f16 v23, v40, s4
	v_add_f16_e32 v6, v73, v6
	v_pk_fma_f16 v75, v41, s5, v23 op_sel:[0,0,1] op_sel_hi:[1,1,0] neg_lo:[1,0,0] neg_hi:[1,0,0]
	v_add_f16_e32 v32, v75, v6
	v_add_f16_sdwa v6, v66, v0 dst_sel:DWORD dst_unused:UNUSED_PAD src0_sel:WORD_1 src1_sel:DWORD
	v_add_f16_sdwa v6, v69, v6 dst_sel:DWORD dst_unused:UNUSED_PAD src0_sel:WORD_1 src1_sel:DWORD
	;; [unrolled: 1-line block ×3, first 2 shown]
	v_mul_f16_sdwa v79, v41, s19 dst_sel:DWORD dst_unused:UNUSED_PAD src0_sel:WORD_1 src1_sel:DWORD
	v_pk_fma_f16 v76, v41, s5, v23 op_sel:[0,0,1] op_sel_hi:[1,1,0]
	v_add_f16_sdwa v6, v74, v6 dst_sel:DWORD dst_unused:UNUSED_PAD src0_sel:WORD_1 src1_sel:DWORD
	v_fma_f16 v23, v40, s9, v79
	s_movk_i32 s21, 0x3853
	v_add_f16_e32 v23, v23, v80
	v_add_f16_sdwa v6, v76, v6 dst_sel:DWORD dst_unused:UNUSED_PAD src0_sel:WORD_1 src1_sel:DWORD
	v_mul_lo_u16_e32 v28, 11, v25
	s_barrier
	s_and_saveexec_b64 s[4:5], s[0:1]
	s_cbranch_execz .LBB0_7
; %bb.6:
	v_mul_f16_e32 v81, 0xb93d, v47
	v_add_f16_e32 v59, v59, v81
	v_mul_f16_e32 v81, 0xb08e, v45
	v_add_f16_e32 v60, v60, v81
	v_add_f16_sdwa v59, v59, v0 dst_sel:DWORD dst_unused:UNUSED_PAD src0_sel:DWORD src1_sel:WORD_1
	v_add_f16_e32 v59, v60, v59
	v_mul_f16_e32 v60, 0x3abb, v54
	v_add_f16_e32 v60, v67, v60
	v_add_f16_e32 v59, v60, v59
	v_mul_f16_e32 v60, 0xbbad, v57
	v_add_f16_e32 v60, v77, v60
	v_mul_f16_e32 v77, 0xb93d, v14
	v_sub_f16_e32 v50, v77, v50
	v_mul_f16_e32 v77, 0xb08e, v16
	v_sub_f16_e32 v52, v77, v52
	v_add_f16_e32 v50, v50, v0
	v_add_f16_e32 v50, v52, v50
	v_mul_f16_e32 v52, 0x3abb, v20
	v_pk_add_f16 v1, v1, v0
	v_sub_f16_e32 v52, v52, v58
	v_pk_add_f16 v1, v11, v1
	v_add_f16_e32 v59, v60, v59
	v_mul_f16_e32 v60, 0x36a6, v63
	v_add_f16_e32 v50, v52, v50
	v_mul_f16_e32 v52, 0xbbad, v34
	v_pk_add_f16 v1, v12, v1
	v_mul_f16_e32 v80, 0x3abb, v14
	v_mul_f16_e32 v81, 0x36a6, v47
	v_add_f16_e32 v60, v78, v60
	v_sub_f16_e32 v52, v52, v65
	v_pk_add_f16 v1, v9, v1
	v_mul_f16_e32 v67, 0xb08e, v14
	v_mul_f16_e32 v47, 0xb08e, v47
	;; [unrolled: 1-line block ×3, first 2 shown]
	v_add_f16_e32 v59, v60, v59
	v_mul_f16_e32 v60, 0xb93d, v45
	v_add_f16_e32 v50, v52, v50
	v_mul_f16_e32 v52, 0x36a6, v40
	v_add_f16_e32 v22, v22, v81
	v_sub_f16_e32 v18, v80, v18
	v_pk_add_f16 v1, v10, v1
	v_mul_f16_e32 v77, 0xbbad, v16
	v_mul_f16_e32 v45, 0xbbad, v45
	;; [unrolled: 1-line block ×4, first 2 shown]
	v_sub_f16_e32 v52, v52, v79
	v_add_f16_e32 v43, v43, v47
	v_sub_f16_e32 v37, v67, v37
	v_add_f16_sdwa v22, v22, v0 dst_sel:DWORD dst_unused:UNUSED_PAD src0_sel:DWORD src1_sel:WORD_1
	v_add_f16_e32 v30, v30, v60
	v_add_f16_e32 v18, v18, v0
	v_sub_f16_e32 v19, v78, v19
	v_pk_add_f16 v1, v7, v1
	v_mul_f16_e32 v79, 0x36a6, v20
	v_mul_f16_e32 v54, 0x36a6, v54
	v_add_f16_e32 v50, v52, v50
	v_mul_f16_e32 v52, 0xb93d, v34
	v_mul_f16_e32 v47, 0xb08e, v57
	v_add_f16_e32 v44, v44, v45
	v_add_f16_sdwa v43, v43, v0 dst_sel:DWORD dst_unused:UNUSED_PAD src0_sel:DWORD src1_sel:WORD_1
	v_add_f16_e32 v37, v37, v0
	v_sub_f16_e32 v39, v77, v39
	v_add_f16_e32 v22, v30, v22
	v_add_f16_e32 v30, v42, v65
	;; [unrolled: 1-line block ×3, first 2 shown]
	v_sub_f16_e32 v19, v58, v38
	v_pk_add_f16 v1, v8, v1
	v_mul_f16_e32 v45, 0x3abb, v34
	v_add_f16_e32 v43, v44, v43
	v_mul_f16_e32 v44, 0xbbad, v40
	v_add_f16_e32 v53, v53, v54
	;; [unrolled: 2-line block ×3, first 2 shown]
	v_sub_f16_e32 v39, v79, v48
	v_add_f16_e32 v22, v30, v22
	v_add_f16_e32 v30, v49, v47
	;; [unrolled: 1-line block ×3, first 2 shown]
	v_sub_f16_e32 v19, v52, v46
	v_pk_add_f16 v1, v2, v1
	v_add_f16_e32 v43, v53, v43
	v_mul_f16_e32 v53, 0xb93d, v40
	v_add_f16_e32 v37, v39, v37
	v_sub_f16_e32 v39, v45, v55
	v_add_f16_e32 v22, v30, v22
	v_add_f16_e32 v30, v61, v54
	s_mov_b32 s22, 0xffff
	v_add_f16_e32 v18, v19, v18
	v_sub_f16_e32 v19, v44, v51
	v_pk_add_f16 v1, v3, v1
	v_add_f16_e32 v37, v39, v37
	v_sub_f16_e32 v39, v53, v62
	v_add_f16_e32 v22, v30, v22
	v_bfi_b32 v30, s22, v66, v64
	v_add_f16_e32 v18, v19, v18
	v_add_lshl_u32 v19, v26, v28, 2
	v_pk_add_f16 v1, v13, v1
	v_add_f16_e32 v37, v39, v37
	v_bfi_b32 v39, s22, v69, v68
	ds_write_b32 v19, v1
	v_pk_add_f16 v1, v30, v0 op_sel:[0,1] op_sel_hi:[1,0]
	v_bfi_b32 v42, s22, v71, v70
	v_pk_add_f16 v1, v39, v1
	v_mul_f16_e32 v57, 0x3abb, v57
	v_bfi_b32 v45, s22, v74, v73
	v_pk_add_f16 v1, v42, v1
	v_mul_f16_e32 v63, 0xb93d, v63
	v_add_f16_e32 v56, v56, v57
	v_bfi_b32 v47, s22, v76, v75
	v_pk_add_f16 v1, v45, v1
	v_add_f16_e32 v43, v56, v43
	v_add_f16_e32 v56, v72, v63
	v_pk_add_f16 v1, v47, v1
	v_add_f16_e32 v43, v56, v43
	v_alignbit_b32 v2, v22, v1, 16
	v_pack_b32_f16 v1, v18, v1
	ds_write2_b32 v19, v1, v2 offset0:1 offset1:2
	v_pack_b32_f16 v1, v50, v59
	v_pack_b32_f16 v2, v37, v43
	ds_write2_b32 v19, v2, v1 offset0:3 offset1:4
	v_pk_mul_f16 v1, v15, s20 op_sel_hi:[1,0]
	v_pk_fma_f16 v2, v14, s17, v1 op_sel:[0,0,1] op_sel_hi:[1,0,0] neg_lo:[0,0,1] neg_hi:[0,0,1]
	v_pk_fma_f16 v1, v14, s17, v1 op_sel:[0,0,1] op_sel_hi:[1,0,0]
	v_pk_mul_f16 v7, v17, s21 op_sel_hi:[1,0]
	v_bfi_b32 v3, s22, v2, v1
	v_pk_fma_f16 v8, v16, s8, v7 op_sel:[0,0,1] op_sel_hi:[1,0,0] neg_lo:[0,0,1] neg_hi:[0,0,1]
	v_pk_fma_f16 v7, v16, s8, v7 op_sel:[0,0,1] op_sel_hi:[1,0,0]
	v_pk_add_f16 v3, v3, v0
	v_bfi_b32 v9, s22, v8, v7
	v_pk_add_f16 v3, v9, v3
	v_pk_mul_f16 v9, v21, s18 op_sel_hi:[1,0]
	v_pk_fma_f16 v10, v20, s11, v9 op_sel:[0,0,1] op_sel_hi:[1,0,0] neg_lo:[0,0,1] neg_hi:[0,0,1]
	v_pk_fma_f16 v9, v20, s11, v9 op_sel:[0,0,1] op_sel_hi:[1,0,0]
	v_bfi_b32 v11, s22, v10, v9
	v_pk_add_f16 v3, v11, v3
	v_pk_mul_f16 v11, v36, s19 op_sel_hi:[1,0]
	v_pk_fma_f16 v12, v34, s9, v11 op_sel:[0,0,1] op_sel_hi:[1,0,0] neg_lo:[0,0,1] neg_hi:[0,0,1]
	v_pk_fma_f16 v11, v34, s9, v11 op_sel:[0,0,1] op_sel_hi:[1,0,0]
	v_bfi_b32 v1, s22, v1, v2
	v_bfi_b32 v13, s22, v12, v11
	v_pk_add_f16 v0, v1, v0
	v_bfi_b32 v1, s22, v7, v8
	v_pk_add_f16 v3, v13, v3
	v_pk_mul_f16 v13, v41, s16 op_sel_hi:[1,0]
	v_pk_add_f16 v0, v1, v0
	v_bfi_b32 v1, s22, v9, v10
	v_pk_fma_f16 v14, v40, s10, v13 op_sel:[0,0,1] op_sel_hi:[1,0,0] neg_lo:[0,0,1] neg_hi:[0,0,1]
	v_pk_fma_f16 v13, v40, s10, v13 op_sel:[0,0,1] op_sel_hi:[1,0,0]
	v_pk_add_f16 v0, v1, v0
	v_bfi_b32 v1, s22, v11, v12
	v_bfi_b32 v15, s22, v14, v13
	v_pk_add_f16 v0, v1, v0
	v_bfi_b32 v1, s22, v13, v14
	v_pk_add_f16 v3, v15, v3
	v_pk_add_f16 v0, v1, v0
	s_mov_b32 s8, 0x5040100
	ds_write2_b32 v19, v3, v0 offset0:5 offset1:6
	v_perm_b32 v0, v33, v5, s8
	v_perm_b32 v1, v35, v23, s8
	ds_write2_b32 v19, v1, v0 offset0:7 offset1:8
	v_perm_b32 v0, v32, v29, s8
	v_perm_b32 v1, v31, v6, s8
	ds_write2_b32 v19, v1, v0 offset0:9 offset1:10
.LBB0_7:
	s_or_b64 exec, exec, s[4:5]
	s_load_dwordx4 s[8:11], s[2:3], 0x0
	s_movk_i32 s2, 0x75
	v_mul_lo_u16_sdwa v0, v25, s2 dst_sel:DWORD dst_unused:UNUSED_PAD src0_sel:BYTE_0 src1_sel:DWORD
	v_sub_u16_sdwa v1, v25, v0 dst_sel:DWORD dst_unused:UNUSED_PAD src0_sel:DWORD src1_sel:BYTE_1
	v_lshrrev_b16_e32 v1, 1, v1
	v_and_b32_e32 v1, 0x7f, v1
	v_add_u16_sdwa v0, v1, v0 dst_sel:DWORD dst_unused:UNUSED_PAD src0_sel:DWORD src1_sel:BYTE_1
	v_lshrrev_b16_e32 v15, 3, v0
	v_mul_lo_u16_e32 v0, 11, v15
	v_sub_u16_e32 v16, v25, v0
	v_mov_b32_e32 v0, 6
	v_mul_u32_u24_sdwa v0, v16, v0 dst_sel:DWORD dst_unused:UNUSED_PAD src0_sel:BYTE_0 src1_sel:DWORD
	v_lshlrev_b32_e32 v9, 2, v0
	s_waitcnt lgkmcnt(0)
	s_barrier
	global_load_dwordx4 v[0:3], v9, s[14:15]
	global_load_dwordx2 v[7:8], v9, s[14:15] offset:16
	v_add_lshl_u32 v30, v26, v25, 2
	ds_read2_b32 v[9:10], v30 offset1:33
	ds_read2_b32 v[11:12], v30 offset0:66 offset1:99
	ds_read2_b32 v[13:14], v30 offset0:132 offset1:165
	ds_read_b32 v17, v30 offset:792
	s_movk_i32 s2, 0x2b26
	s_mov_b32 s4, 0xbcab
	s_waitcnt lgkmcnt(3)
	v_lshrrev_b32_e32 v18, 16, v10
	s_waitcnt lgkmcnt(2)
	v_lshrrev_b32_e32 v19, 16, v11
	v_lshrrev_b32_e32 v20, 16, v12
	s_waitcnt lgkmcnt(1)
	v_lshrrev_b32_e32 v21, 16, v13
	;; [unrolled: 3-line block ×3, first 2 shown]
	s_movk_i32 s3, 0x3b00
	v_mul_u32_u24_e32 v15, 0x4d, v15
	v_add_u32_sdwa v15, v15, v16 dst_sel:DWORD dst_unused:UNUSED_PAD src0_sel:DWORD src1_sel:BYTE_0
	s_waitcnt vmcnt(0)
	s_barrier
	v_mul_f16_sdwa v36, v18, v0 dst_sel:DWORD dst_unused:UNUSED_PAD src0_sel:DWORD src1_sel:WORD_1
	v_mul_f16_sdwa v37, v10, v0 dst_sel:DWORD dst_unused:UNUSED_PAD src0_sel:DWORD src1_sel:WORD_1
	;; [unrolled: 1-line block ×12, first 2 shown]
	v_fma_f16 v10, v10, v0, -v36
	v_fma_f16 v18, v18, v0, v37
	v_fma_f16 v11, v11, v1, -v38
	v_fma_f16 v19, v19, v1, v39
	;; [unrolled: 2-line block ×6, first 2 shown]
	v_add_f16_e32 v36, v10, v17
	v_add_f16_e32 v37, v18, v34
	v_sub_f16_e32 v10, v10, v17
	v_sub_f16_e32 v17, v18, v34
	v_add_f16_e32 v18, v11, v14
	v_add_f16_e32 v34, v19, v22
	v_sub_f16_e32 v11, v11, v14
	v_sub_f16_e32 v14, v19, v22
	;; [unrolled: 4-line block ×4, first 2 shown]
	v_sub_f16_e32 v36, v36, v19
	v_sub_f16_e32 v37, v37, v22
	;; [unrolled: 1-line block ×4, first 2 shown]
	v_add_f16_e32 v19, v19, v20
	v_add_f16_e32 v20, v22, v21
	v_mul_f16_e32 v21, 0x3a52, v36
	v_mul_f16_e32 v22, 0x3a52, v37
	;; [unrolled: 1-line block ×4, first 2 shown]
	v_fma_f16 v18, v18, s2, v21
	v_fma_f16 v34, v34, s2, v22
	s_movk_i32 s2, 0x39e0
	v_add_f16_e32 v40, v12, v11
	v_add_f16_e32 v41, v13, v14
	v_sub_f16_e32 v42, v12, v11
	v_sub_f16_e32 v43, v13, v14
	v_fma_f16 v36, v38, s2, -v36
	v_fma_f16 v37, v39, s2, -v37
	s_mov_b32 s2, 0xb9e0
	v_sub_f16_e32 v12, v10, v12
	v_sub_f16_e32 v13, v17, v13
	;; [unrolled: 1-line block ×4, first 2 shown]
	v_add_f16_e32 v10, v40, v10
	v_add_f16_e32 v17, v41, v17
	v_mul_f16_e32 v40, 0xb846, v42
	v_mul_f16_e32 v41, 0xb846, v43
	v_fma_f16 v21, v38, s2, -v21
	v_fma_f16 v22, v39, s2, -v22
	s_movk_i32 s2, 0x3574
	v_mul_f16_e32 v42, 0x3b00, v11
	v_mul_f16_e32 v43, 0x3b00, v14
	v_add_f16_e32 v44, v9, v19
	v_add_f16_sdwa v9, v9, v20 dst_sel:DWORD dst_unused:UNUSED_PAD src0_sel:WORD_1 src1_sel:DWORD
	v_fma_f16 v38, v12, s2, v40
	v_fma_f16 v39, v13, s2, v41
	s_mov_b32 s2, 0xb574
	v_fma_f16 v19, v19, s4, v44
	v_fma_f16 v20, v20, s4, v9
	v_fma_f16 v12, v12, s2, -v42
	v_fma_f16 v13, v13, s2, -v43
	s_movk_i32 s2, 0x370e
	v_fma_f16 v11, v11, s3, -v40
	v_fma_f16 v14, v14, s3, -v41
	v_add_f16_e32 v18, v18, v19
	v_add_f16_e32 v34, v34, v20
	v_add_f16_e32 v36, v36, v19
	v_add_f16_e32 v37, v37, v20
	v_add_f16_e32 v19, v21, v19
	v_add_f16_e32 v20, v22, v20
	v_fma_f16 v21, v10, s2, v38
	v_fma_f16 v22, v17, s2, v39
	;; [unrolled: 1-line block ×6, first 2 shown]
	v_add_f16_e32 v13, v22, v18
	v_sub_f16_e32 v17, v34, v21
	v_add_f16_e32 v38, v12, v19
	v_sub_f16_e32 v39, v20, v10
	v_sub_f16_e32 v40, v36, v14
	v_add_f16_e32 v41, v11, v37
	v_add_f16_e32 v43, v21, v34
	v_add_lshl_u32 v34, v26, v15, 2
	v_pack_b32_f16 v9, v44, v9
	v_pack_b32_f16 v13, v13, v17
	v_add_f16_e32 v14, v14, v36
	v_sub_f16_e32 v11, v37, v11
	v_sub_f16_e32 v12, v19, v12
	v_add_f16_e32 v10, v10, v20
	ds_write2_b32 v34, v9, v13 offset1:11
	v_pack_b32_f16 v9, v38, v39
	v_pack_b32_f16 v13, v40, v41
	v_sub_f16_e32 v22, v18, v22
	ds_write2_b32 v34, v9, v13 offset0:22 offset1:33
	v_pack_b32_f16 v9, v14, v11
	v_pack_b32_f16 v10, v12, v10
	ds_write2_b32 v34, v9, v10 offset0:44 offset1:55
	v_pack_b32_f16 v9, v22, v43
	ds_write_b32 v34, v9 offset:264
	s_waitcnt lgkmcnt(0)
	s_barrier
	ds_read2_b32 v[18:19], v30 offset1:33
	ds_read2_b32 v[15:16], v30 offset0:77 offset1:110
	ds_read2_b32 v[20:21], v30 offset0:154 offset1:187
	v_cmp_gt_u16_e64 s[2:3], 11, v25
	s_and_saveexec_b64 s[4:5], s[2:3]
	s_cbranch_execz .LBB0_9
; %bb.8:
	ds_read2_b32 v[22:23], v30 offset0:66 offset1:143
	ds_read_b32 v5, v30 offset:880
	s_waitcnt lgkmcnt(1)
	v_lshrrev_b32_e32 v43, 16, v22
	v_lshrrev_b32_e32 v35, 16, v23
	s_waitcnt lgkmcnt(0)
	v_lshrrev_b32_e32 v33, 16, v5
.LBB0_9:
	s_or_b64 exec, exec, s[4:5]
	v_lshlrev_b32_e32 v9, 3, v25
	global_load_dwordx2 v[11:12], v9, s[14:15] offset:264
	v_add_u32_e32 v9, 0x108, v9
	global_load_dwordx2 v[13:14], v9, s[14:15] offset:264
	v_add_co_u32_e32 v9, vcc, 0x42, v25
	v_add_co_u32_e64 v10, s[4:5], -11, v25
	v_addc_co_u32_e64 v17, s[4:5], 0, -1, s[4:5]
	v_addc_co_u32_e64 v37, s[4:5], 0, 0, vcc
	v_cndmask_b32_e64 v9, v10, v9, s[2:3]
	v_cndmask_b32_e64 v10, v17, v37, s[2:3]
	v_lshlrev_b64 v[9:10], 3, v[9:10]
	v_mov_b32_e32 v36, s15
	v_add_co_u32_e32 v9, vcc, s14, v9
	v_addc_co_u32_e32 v10, vcc, v36, v10, vcc
	global_load_dwordx2 v[9:10], v[9:10], off offset:264
	s_waitcnt lgkmcnt(1)
	v_lshrrev_b32_e32 v36, 16, v15
	s_waitcnt lgkmcnt(0)
	v_lshrrev_b32_e32 v37, 16, v20
	v_lshrrev_b32_e32 v38, 16, v16
	;; [unrolled: 1-line block ×5, first 2 shown]
	s_movk_i32 s4, 0x3aee
	s_mov_b32 s5, 0xbaee
	s_waitcnt vmcnt(2)
	v_mul_f16_sdwa v41, v36, v11 dst_sel:DWORD dst_unused:UNUSED_PAD src0_sel:DWORD src1_sel:WORD_1
	v_mul_f16_sdwa v42, v15, v11 dst_sel:DWORD dst_unused:UNUSED_PAD src0_sel:DWORD src1_sel:WORD_1
	;; [unrolled: 1-line block ×4, first 2 shown]
	v_fma_f16 v15, v15, v11, -v41
	v_fma_f16 v36, v36, v11, v42
	v_fma_f16 v20, v20, v12, -v44
	v_fma_f16 v37, v37, v12, v45
	s_waitcnt vmcnt(1)
	v_mul_f16_sdwa v41, v38, v13 dst_sel:DWORD dst_unused:UNUSED_PAD src0_sel:DWORD src1_sel:WORD_1
	v_mul_f16_sdwa v42, v16, v13 dst_sel:DWORD dst_unused:UNUSED_PAD src0_sel:DWORD src1_sel:WORD_1
	;; [unrolled: 1-line block ×4, first 2 shown]
	v_fma_f16 v16, v16, v13, -v41
	v_fma_f16 v38, v38, v13, v42
	v_fma_f16 v21, v21, v14, -v44
	v_add_f16_e32 v41, v18, v15
	v_add_f16_e32 v42, v15, v20
	;; [unrolled: 1-line block ×3, first 2 shown]
	v_fma_f16 v39, v39, v14, v45
	v_sub_f16_e32 v44, v36, v37
	v_add_f16_e32 v45, v17, v36
	v_sub_f16_e32 v47, v15, v20
	v_add_f16_e32 v15, v41, v20
	v_fma_f16 v18, v42, -0.5, v18
	v_fma_f16 v20, v46, -0.5, v17
	v_add_f16_e32 v42, v16, v21
	v_add_f16_e32 v46, v40, v38
	;; [unrolled: 1-line block ×4, first 2 shown]
	v_sub_f16_e32 v45, v38, v39
	v_add_f16_e32 v48, v38, v39
	v_sub_f16_e32 v49, v16, v21
	v_fma_f16 v16, v44, s4, v18
	v_fma_f16 v17, v44, s5, v18
	;; [unrolled: 1-line block ×4, first 2 shown]
	v_fma_f16 v20, v42, -0.5, v19
	v_add_f16_e32 v39, v46, v39
	s_waitcnt vmcnt(0)
	v_mul_f16_sdwa v42, v35, v9 dst_sel:DWORD dst_unused:UNUSED_PAD src0_sel:DWORD src1_sel:WORD_1
	v_mul_f16_sdwa v44, v23, v9 dst_sel:DWORD dst_unused:UNUSED_PAD src0_sel:DWORD src1_sel:WORD_1
	;; [unrolled: 1-line block ×4, first 2 shown]
	v_fma_f16 v23, v23, v9, -v42
	v_fma_f16 v35, v35, v9, v44
	v_fma_f16 v44, v5, v10, -v46
	v_add_f16_e32 v18, v41, v21
	v_fma_f16 v21, v48, -0.5, v40
	v_fma_f16 v33, v33, v10, v47
	v_add_f16_e32 v5, v22, v23
	v_add_f16_e32 v42, v23, v44
	;; [unrolled: 1-line block ×3, first 2 shown]
	v_fma_f16 v19, v45, s4, v20
	v_fma_f16 v20, v45, s5, v20
	;; [unrolled: 1-line block ×4, first 2 shown]
	v_sub_f16_e32 v45, v35, v33
	v_add_f16_e32 v21, v5, v44
	v_fma_f16 v5, v42, -0.5, v22
	v_add_f16_e32 v42, v46, v33
	v_add_f16_e32 v33, v35, v33
	v_fma_f16 v33, v33, -0.5, v43
	v_sub_f16_e32 v23, v23, v44
	v_fma_f16 v22, v45, s4, v5
	v_fma_f16 v5, v45, s5, v5
	;; [unrolled: 1-line block ×4, first 2 shown]
	v_lshl_add_u32 v33, v25, 2, v27
	v_pack_b32_f16 v35, v16, v37
	v_pack_b32_f16 v45, v17, v38
	;; [unrolled: 1-line block ×3, first 2 shown]
	ds_write2_b32 v33, v35, v45 offset0:77 offset1:154
	v_pack_b32_f16 v45, v18, v39
	v_add_u32_e32 v35, v24, v27
	ds_write2_b32 v33, v23, v45 offset1:33
	v_pack_b32_f16 v23, v19, v40
	v_pack_b32_f16 v45, v20, v41
	ds_write2_b32 v35, v23, v45 offset0:110 offset1:187
	s_and_saveexec_b64 s[4:5], s[2:3]
	s_cbranch_execz .LBB0_11
; %bb.10:
	s_mov_b32 s14, 0x5040100
	v_perm_b32 v23, v42, v21, s14
	v_perm_b32 v45, v43, v22, s14
	ds_write2_b32 v33, v23, v45 offset0:66 offset1:143
	v_perm_b32 v23, v44, v5, s14
	ds_write_b32 v33, v23 offset:880
.LBB0_11:
	s_or_b64 exec, exec, s[4:5]
	s_waitcnt lgkmcnt(0)
	s_barrier
	s_and_saveexec_b64 s[4:5], s[0:1]
	s_cbranch_execz .LBB0_13
; %bb.12:
	global_load_dword v47, v24, s[6:7] offset:924
	ds_read2_b32 v[45:46], v33 offset1:21
	s_add_u32 s14, s6, 0x39c
	s_addc_u32 s15, s7, 0
	s_waitcnt lgkmcnt(0)
	v_lshrrev_b32_e32 v23, 16, v45
	s_waitcnt vmcnt(0)
	v_mul_f16_sdwa v48, v23, v47 dst_sel:DWORD dst_unused:UNUSED_PAD src0_sel:DWORD src1_sel:WORD_1
	v_fma_f16 v48, v45, v47, -v48
	v_mul_f16_sdwa v45, v45, v47 dst_sel:DWORD dst_unused:UNUSED_PAD src0_sel:DWORD src1_sel:WORD_1
	v_fma_f16 v23, v23, v47, v45
	global_load_dword v47, v24, s[14:15] offset:84
	v_lshrrev_b32_e32 v45, 16, v46
	v_pack_b32_f16 v23, v48, v23
	s_waitcnt vmcnt(0)
	v_mul_f16_sdwa v48, v45, v47 dst_sel:DWORD dst_unused:UNUSED_PAD src0_sel:DWORD src1_sel:WORD_1
	v_fma_f16 v48, v46, v47, -v48
	v_mul_f16_sdwa v46, v46, v47 dst_sel:DWORD dst_unused:UNUSED_PAD src0_sel:DWORD src1_sel:WORD_1
	v_fma_f16 v45, v45, v47, v46
	global_load_dword v47, v24, s[14:15] offset:168
	v_pack_b32_f16 v45, v48, v45
	ds_write2_b32 v33, v23, v45 offset1:21
	ds_read2_b32 v[45:46], v33 offset0:42 offset1:63
	s_waitcnt lgkmcnt(0)
	v_lshrrev_b32_e32 v23, 16, v45
	s_waitcnt vmcnt(0)
	v_mul_f16_sdwa v48, v23, v47 dst_sel:DWORD dst_unused:UNUSED_PAD src0_sel:DWORD src1_sel:WORD_1
	v_fma_f16 v48, v45, v47, -v48
	v_mul_f16_sdwa v45, v45, v47 dst_sel:DWORD dst_unused:UNUSED_PAD src0_sel:DWORD src1_sel:WORD_1
	v_fma_f16 v23, v23, v47, v45
	global_load_dword v47, v24, s[14:15] offset:252
	v_lshrrev_b32_e32 v45, 16, v46
	v_pack_b32_f16 v23, v48, v23
	s_waitcnt vmcnt(0)
	v_mul_f16_sdwa v48, v45, v47 dst_sel:DWORD dst_unused:UNUSED_PAD src0_sel:DWORD src1_sel:WORD_1
	v_fma_f16 v48, v46, v47, -v48
	v_mul_f16_sdwa v46, v46, v47 dst_sel:DWORD dst_unused:UNUSED_PAD src0_sel:DWORD src1_sel:WORD_1
	v_fma_f16 v45, v45, v47, v46
	global_load_dword v47, v24, s[14:15] offset:336
	v_pack_b32_f16 v45, v48, v45
	ds_write2_b32 v33, v23, v45 offset0:42 offset1:63
	ds_read2_b32 v[45:46], v33 offset0:84 offset1:105
	s_waitcnt lgkmcnt(0)
	v_lshrrev_b32_e32 v23, 16, v45
	s_waitcnt vmcnt(0)
	v_mul_f16_sdwa v48, v23, v47 dst_sel:DWORD dst_unused:UNUSED_PAD src0_sel:DWORD src1_sel:WORD_1
	v_fma_f16 v48, v45, v47, -v48
	v_mul_f16_sdwa v45, v45, v47 dst_sel:DWORD dst_unused:UNUSED_PAD src0_sel:DWORD src1_sel:WORD_1
	v_fma_f16 v23, v23, v47, v45
	global_load_dword v47, v24, s[14:15] offset:420
	v_lshrrev_b32_e32 v45, 16, v46
	v_pack_b32_f16 v23, v48, v23
	s_waitcnt vmcnt(0)
	v_mul_f16_sdwa v48, v45, v47 dst_sel:DWORD dst_unused:UNUSED_PAD src0_sel:DWORD src1_sel:WORD_1
	v_fma_f16 v48, v46, v47, -v48
	v_mul_f16_sdwa v46, v46, v47 dst_sel:DWORD dst_unused:UNUSED_PAD src0_sel:DWORD src1_sel:WORD_1
	v_fma_f16 v45, v45, v47, v46
	global_load_dword v47, v24, s[14:15] offset:504
	v_pack_b32_f16 v45, v48, v45
	ds_write2_b32 v33, v23, v45 offset0:84 offset1:105
	ds_read2_b32 v[45:46], v33 offset0:126 offset1:147
	s_waitcnt lgkmcnt(0)
	v_lshrrev_b32_e32 v23, 16, v45
	s_waitcnt vmcnt(0)
	v_mul_f16_sdwa v48, v23, v47 dst_sel:DWORD dst_unused:UNUSED_PAD src0_sel:DWORD src1_sel:WORD_1
	v_fma_f16 v48, v45, v47, -v48
	v_mul_f16_sdwa v45, v45, v47 dst_sel:DWORD dst_unused:UNUSED_PAD src0_sel:DWORD src1_sel:WORD_1
	v_fma_f16 v23, v23, v47, v45
	global_load_dword v47, v24, s[14:15] offset:588
	v_lshrrev_b32_e32 v45, 16, v46
	v_pack_b32_f16 v23, v48, v23
	s_waitcnt vmcnt(0)
	v_mul_f16_sdwa v48, v45, v47 dst_sel:DWORD dst_unused:UNUSED_PAD src0_sel:DWORD src1_sel:WORD_1
	v_fma_f16 v48, v46, v47, -v48
	v_mul_f16_sdwa v46, v46, v47 dst_sel:DWORD dst_unused:UNUSED_PAD src0_sel:DWORD src1_sel:WORD_1
	v_fma_f16 v45, v45, v47, v46
	global_load_dword v47, v24, s[14:15] offset:672
	v_pack_b32_f16 v45, v48, v45
	ds_write2_b32 v33, v23, v45 offset0:126 offset1:147
	ds_read2_b32 v[45:46], v33 offset0:168 offset1:189
	s_waitcnt lgkmcnt(0)
	v_lshrrev_b32_e32 v23, 16, v45
	s_waitcnt vmcnt(0)
	v_mul_f16_sdwa v48, v23, v47 dst_sel:DWORD dst_unused:UNUSED_PAD src0_sel:DWORD src1_sel:WORD_1
	v_fma_f16 v48, v45, v47, -v48
	v_mul_f16_sdwa v45, v45, v47 dst_sel:DWORD dst_unused:UNUSED_PAD src0_sel:DWORD src1_sel:WORD_1
	v_fma_f16 v23, v23, v47, v45
	global_load_dword v47, v24, s[14:15] offset:756
	v_lshrrev_b32_e32 v45, 16, v46
	v_pack_b32_f16 v23, v48, v23
	s_waitcnt vmcnt(0)
	v_mul_f16_sdwa v48, v45, v47 dst_sel:DWORD dst_unused:UNUSED_PAD src0_sel:DWORD src1_sel:WORD_1
	v_fma_f16 v48, v46, v47, -v48
	v_mul_f16_sdwa v46, v46, v47 dst_sel:DWORD dst_unused:UNUSED_PAD src0_sel:DWORD src1_sel:WORD_1
	v_fma_f16 v45, v45, v47, v46
	global_load_dword v46, v24, s[14:15] offset:840
	v_pack_b32_f16 v45, v48, v45
	ds_write2_b32 v33, v23, v45 offset0:168 offset1:189
	ds_read_b32 v23, v33 offset:840
	s_waitcnt lgkmcnt(0)
	v_lshrrev_b32_e32 v45, 16, v23
	s_waitcnt vmcnt(0)
	v_mul_f16_sdwa v47, v45, v46 dst_sel:DWORD dst_unused:UNUSED_PAD src0_sel:DWORD src1_sel:WORD_1
	v_fma_f16 v47, v23, v46, -v47
	v_mul_f16_sdwa v23, v23, v46 dst_sel:DWORD dst_unused:UNUSED_PAD src0_sel:DWORD src1_sel:WORD_1
	v_fma_f16 v23, v45, v46, v23
	v_pack_b32_f16 v23, v47, v23
	ds_write_b32 v33, v23 offset:840
.LBB0_13:
	s_or_b64 exec, exec, s[4:5]
	s_waitcnt lgkmcnt(0)
	s_barrier
	s_and_saveexec_b64 s[4:5], s[0:1]
	s_cbranch_execz .LBB0_15
; %bb.14:
	ds_read2_b32 v[15:16], v33 offset1:21
	ds_read2_b32 v[17:18], v33 offset0:42 offset1:63
	ds_read2_b32 v[19:20], v33 offset0:84 offset1:105
	;; [unrolled: 1-line block ×4, first 2 shown]
	ds_read_b32 v29, v33 offset:840
	s_waitcnt lgkmcnt(5)
	v_lshrrev_b32_e32 v36, 16, v15
	v_lshrrev_b32_e32 v37, 16, v16
	s_waitcnt lgkmcnt(4)
	v_lshrrev_b32_e32 v38, 16, v17
	v_lshrrev_b32_e32 v39, 16, v18
	;; [unrolled: 3-line block ×5, first 2 shown]
	s_waitcnt lgkmcnt(0)
	v_lshrrev_b32_e32 v32, 16, v29
.LBB0_15:
	s_or_b64 exec, exec, s[4:5]
	v_sub_f16_e32 v58, v37, v32
	v_add_f16_e32 v48, v29, v16
	v_add_f16_e32 v59, v32, v37
	s_mov_b32 s14, 0xb08e
	v_mul_f16_e32 v65, 0xbbeb, v58
	v_sub_f16_e32 v60, v38, v31
	v_sub_f16_e32 v49, v16, v29
	v_mul_f16_e32 v68, 0xb08e, v59
	v_fma_f16 v23, v48, s14, -v65
	v_add_f16_e32 v50, v6, v17
	v_add_f16_e32 v61, v31, v38
	v_mul_f16_e32 v69, 0x3482, v60
	v_add_f16_e32 v23, v15, v23
	v_fma_f16 v45, v49, s16, v68
	s_mov_b32 s15, 0xb93d
	v_mul_f16_e32 v71, 0xba0c, v58
	v_sub_f16_e32 v51, v17, v6
	s_movk_i32 s20, 0x3482
	v_mul_f16_e32 v72, 0xbbad, v61
	v_fma_f16 v52, v50, s17, -v69
	v_add_f16_e32 v45, v36, v45
	v_mul_f16_e32 v74, 0xb93d, v59
	v_fma_f16 v46, v48, s15, -v71
	v_add_f16_e32 v23, v52, v23
	v_fma_f16 v52, v51, s20, v72
	v_mul_f16_e32 v75, 0x3beb, v60
	v_add_f16_e32 v46, v15, v46
	v_fma_f16 v47, v49, s18, v74
	v_add_f16_e32 v45, v52, v45
	s_movk_i32 s22, 0x3beb
	v_mul_f16_e32 v78, 0xb08e, v61
	v_fma_f16 v52, v50, s14, -v75
	v_add_f16_e32 v47, v36, v47
	v_add_f16_e32 v46, v52, v46
	v_fma_f16 v52, v51, s22, v78
	v_sub_f16_e32 v62, v39, v44
	v_add_f16_e32 v47, v52, v47
	v_add_f16_e32 v52, v5, v18
	v_add_f16_e32 v63, v44, v39
	s_movk_i32 s19, 0x36a6
	v_mul_f16_e32 v73, 0x3b47, v62
	v_sub_f16_e32 v53, v18, v5
	s_movk_i32 s25, 0x3b47
	v_mul_f16_e32 v76, 0x36a6, v63
	v_fma_f16 v54, v52, s19, -v73
	v_add_f16_e32 v23, v54, v23
	v_fma_f16 v54, v53, s25, v76
	s_movk_i32 s21, 0x3abb
	v_mul_f16_e32 v80, 0xb853, v62
	v_add_f16_e32 v45, v54, v45
	s_mov_b32 s23, 0xb853
	v_mul_f16_e32 v82, 0x3abb, v63
	v_fma_f16 v54, v52, s21, -v80
	v_add_f16_e32 v46, v54, v46
	v_fma_f16 v54, v53, s23, v82
	v_sub_f16_e32 v64, v40, v43
	v_add_f16_e32 v47, v54, v47
	v_add_f16_e32 v54, v22, v19
	;; [unrolled: 1-line block ×3, first 2 shown]
	v_mul_f16_e32 v77, 0xb853, v64
	v_sub_f16_e32 v55, v19, v22
	v_mul_f16_e32 v79, 0x3abb, v66
	v_fma_f16 v56, v54, s21, -v77
	v_add_f16_e32 v23, v56, v23
	v_fma_f16 v56, v55, s23, v79
	v_mul_f16_e32 v84, 0xb482, v64
	v_add_f16_e32 v86, v56, v45
	s_mov_b32 s24, 0xb482
	v_mul_f16_e32 v85, 0xbbad, v66
	v_fma_f16 v45, v54, s17, -v84
	v_sub_f16_e32 v67, v41, v42
	v_add_f16_e32 v88, v45, v46
	v_fma_f16 v45, v55, s24, v85
	v_add_f16_e32 v56, v21, v20
	v_add_f16_e32 v70, v42, v41
	v_mul_f16_e32 v81, 0xba0c, v67
	v_add_f16_e32 v47, v45, v47
	v_sub_f16_e32 v57, v20, v21
	v_mul_f16_e32 v83, 0xb93d, v70
	v_fma_f16 v45, v56, s15, -v81
	v_add_f16_e32 v45, v45, v23
	v_fma_f16 v23, v57, s18, v83
	v_add_f16_e32 v46, v23, v86
	v_mul_f16_e32 v86, 0x3b47, v67
	v_mul_f16_e32 v87, 0x36a6, v70
	v_fma_f16 v23, v56, s19, -v86
	v_add_f16_e32 v23, v23, v88
	v_fma_f16 v88, v57, s25, v87
	v_add_f16_e32 v47, v88, v47
	s_barrier
	s_and_saveexec_b64 s[4:5], s[0:1]
	s_cbranch_execz .LBB0_17
; %bb.16:
	v_mul_f16_e32 v108, 0xbbad, v59
	v_fma_f16 v109, v49, s20, v108
	v_mul_f16_e32 v110, 0x3abb, v61
	v_add_f16_e32 v16, v16, v15
	v_add_f16_e32 v109, v36, v109
	v_fma_f16 v111, v51, s23, v110
	v_add_f16_e32 v16, v17, v16
	v_mul_f16_e32 v88, 0xb08e, v48
	v_add_f16_e32 v109, v111, v109
	v_mul_f16_e32 v111, 0xb93d, v63
	s_movk_i32 s26, 0x3a0c
	v_add_f16_e32 v16, v18, v16
	v_mul_f16_e32 v89, 0xbbeb, v49
	v_mul_f16_e32 v92, 0xbbad, v50
	v_fma_f16 v112, v53, s26, v111
	v_add_f16_e32 v65, v88, v65
	v_add_f16_e32 v16, v19, v16
	v_mul_f16_e32 v90, 0xb93d, v48
	v_mul_f16_e32 v93, 0x3482, v51
	;; [unrolled: 1-line block ×3, first 2 shown]
	v_add_f16_e32 v109, v112, v109
	v_mul_f16_e32 v112, 0x36a6, v66
	s_mov_b32 s27, 0xbb47
	v_sub_f16_e32 v68, v68, v89
	v_add_f16_e32 v65, v15, v65
	v_add_f16_e32 v69, v92, v69
	;; [unrolled: 1-line block ×3, first 2 shown]
	v_mul_f16_e32 v94, 0xb08e, v50
	v_mul_f16_e32 v97, 0x3b47, v53
	;; [unrolled: 1-line block ×3, first 2 shown]
	v_fma_f16 v113, v55, s27, v112
	v_add_f16_e32 v71, v90, v71
	v_add_f16_e32 v68, v36, v68
	v_sub_f16_e32 v72, v72, v93
	v_add_f16_e32 v65, v69, v65
	v_add_f16_e32 v69, v96, v73
	;; [unrolled: 1-line block ×3, first 2 shown]
	v_mul_f16_e32 v98, 0x3abb, v52
	v_mul_f16_e32 v101, 0xb853, v55
	;; [unrolled: 1-line block ×3, first 2 shown]
	v_add_f16_e32 v109, v113, v109
	v_mul_f16_e32 v113, 0xb08e, v70
	v_add_f16_e32 v71, v15, v71
	v_add_f16_e32 v75, v94, v75
	;; [unrolled: 1-line block ×3, first 2 shown]
	v_sub_f16_e32 v72, v76, v97
	v_add_f16_e32 v65, v69, v65
	v_add_f16_e32 v69, v100, v77
	;; [unrolled: 1-line block ×3, first 2 shown]
	v_mul_f16_e32 v102, 0xbbad, v54
	v_mul_f16_e32 v105, 0xba0c, v57
	v_fma_f16 v114, v57, s22, v113
	s_movk_i32 s28, 0x3853
	v_add_f16_e32 v71, v75, v71
	v_add_f16_e32 v75, v98, v80
	v_add_f16_e32 v68, v72, v68
	v_sub_f16_e32 v72, v79, v101
	v_add_f16_e32 v65, v69, v65
	v_add_f16_e32 v69, v104, v81
	;; [unrolled: 1-line block ×3, first 2 shown]
	v_fma_f16 v16, v49, s24, v108
	v_mul_f16_e32 v106, 0x36a6, v56
	v_add_f16_e32 v109, v114, v109
	v_mul_f16_e32 v114, 0xb482, v58
	v_add_f16_e32 v71, v75, v71
	v_add_f16_e32 v75, v102, v84
	;; [unrolled: 1-line block ×3, first 2 shown]
	v_sub_f16_e32 v72, v83, v105
	v_add_f16_e32 v65, v69, v65
	v_mul_f16_e32 v69, 0x36a6, v59
	v_add_f16_e32 v16, v36, v16
	v_fma_f16 v17, v51, s28, v110
	v_fma_f16 v115, v48, s17, v114
	v_mul_f16_e32 v116, 0x3853, v60
	v_add_f16_e32 v71, v75, v71
	v_add_f16_e32 v75, v106, v86
	;; [unrolled: 1-line block ×3, first 2 shown]
	v_fma_f16 v72, v49, s25, v69
	v_mul_f16_e32 v73, 0xb93d, v61
	v_add_f16_e32 v16, v17, v16
	v_fma_f16 v17, v53, s18, v111
	v_mul_f16_e32 v91, 0xba0c, v49
	v_add_f16_e32 v115, v15, v115
	v_fma_f16 v117, v50, s21, v116
	v_add_f16_e32 v71, v75, v71
	v_add_f16_e32 v72, v36, v72
	v_fma_f16 v75, v51, s26, v73
	v_add_f16_e32 v16, v17, v16
	v_fma_f16 v17, v55, s25, v112
	v_mul_f16_e32 v95, 0x3beb, v51
	v_add_f16_e32 v115, v117, v115
	v_mul_f16_e32 v117, 0xba0c, v62
	v_sub_f16_e32 v74, v74, v91
	v_add_f16_e32 v72, v75, v72
	v_mul_f16_e32 v75, 0xbbad, v63
	v_add_f16_e32 v16, v17, v16
	v_fma_f16 v17, v57, s16, v113
	v_mul_f16_e32 v99, 0xb853, v53
	v_fma_f16 v118, v52, s15, v117
	v_add_f16_e32 v74, v36, v74
	v_sub_f16_e32 v78, v78, v95
	v_fma_f16 v76, v53, s24, v75
	v_add_f16_e32 v16, v17, v16
	v_fma_f16 v17, v48, s17, -v114
	v_mul_f16_e32 v103, 0xb482, v55
	v_add_f16_e32 v115, v118, v115
	v_mul_f16_e32 v118, 0x3b47, v64
	v_add_f16_e32 v74, v78, v74
	v_sub_f16_e32 v78, v82, v99
	v_add_f16_e32 v72, v76, v72
	v_mul_f16_e32 v76, 0xb08e, v66
	v_add_f16_e32 v17, v15, v17
	v_fma_f16 v18, v50, s21, -v116
	v_mul_f16_e32 v107, 0x3b47, v57
	v_fma_f16 v119, v54, s19, v118
	v_add_f16_e32 v74, v78, v74
	v_sub_f16_e32 v78, v85, v103
	v_fma_f16 v77, v55, s16, v76
	v_add_f16_e32 v17, v18, v17
	v_fma_f16 v18, v52, s15, -v117
	v_add_f16_e32 v115, v119, v115
	v_mul_f16_e32 v119, 0xbbeb, v67
	v_add_f16_e32 v74, v78, v74
	v_sub_f16_e32 v78, v87, v107
	v_add_f16_e32 v72, v77, v72
	v_mul_f16_e32 v77, 0x3abb, v70
	v_add_f16_e32 v17, v18, v17
	v_fma_f16 v18, v54, s19, -v118
	v_add_f16_e32 v74, v78, v74
	v_fma_f16 v78, v57, s23, v77
	v_add_f16_e32 v17, v18, v17
	v_fma_f16 v18, v56, s14, -v119
	v_add_f16_e32 v72, v78, v72
	v_mul_f16_e32 v78, 0xbb47, v58
	v_add_f16_e32 v17, v18, v17
	v_fma_f16 v18, v49, s27, v69
	v_fma_f16 v79, v48, s19, v78
	v_mul_f16_e32 v80, 0xba0c, v60
	v_add_f16_e32 v18, v36, v18
	v_fma_f16 v19, v51, s18, v73
	v_add_f16_e32 v79, v15, v79
	v_fma_f16 v81, v50, s15, v80
	;; [unrolled: 2-line block ×3, first 2 shown]
	v_add_f16_e32 v79, v81, v79
	v_mul_f16_e32 v81, 0x3482, v62
	v_add_f16_e32 v18, v19, v18
	v_fma_f16 v19, v55, s22, v76
	v_fma_f16 v82, v52, s17, v81
	v_add_f16_e32 v18, v19, v18
	v_fma_f16 v19, v57, s28, v77
	v_add_f16_e32 v79, v82, v79
	v_mul_f16_e32 v82, 0x3beb, v64
	v_add_f16_e32 v18, v19, v18
	v_fma_f16 v19, v48, s19, -v78
	v_fma_f16 v83, v54, s14, v82
	v_add_f16_e32 v19, v15, v19
	v_fma_f16 v20, v50, s15, -v80
	v_add_f16_e32 v79, v83, v79
	v_mul_f16_e32 v83, 0x3853, v67
	v_add_f16_e32 v19, v20, v19
	v_fma_f16 v20, v52, s17, -v81
	v_fma_f16 v84, v56, s21, v83
	v_mul_f16_e32 v59, 0x3abb, v59
	v_add_f16_e32 v19, v20, v19
	v_fma_f16 v20, v54, s14, -v82
	v_add_f16_e32 v79, v84, v79
	v_fma_f16 v84, v49, s28, v59
	v_mul_f16_e32 v61, 0x36a6, v61
	v_add_f16_e32 v19, v20, v19
	v_fma_f16 v20, v56, s21, -v83
	v_add_f16_e32 v84, v36, v84
	v_fma_f16 v85, v51, s25, v61
	v_mul_f16_e32 v63, 0xb08e, v63
	v_add_f16_e32 v5, v6, v5
	v_add_f16_e32 v6, v37, v36
	;; [unrolled: 1-line block ×3, first 2 shown]
	v_fma_f16 v20, v49, s23, v59
	v_add_f16_e32 v84, v85, v84
	v_fma_f16 v85, v53, s22, v63
	v_mul_f16_e32 v66, 0xb93d, v66
	v_add_f16_e32 v6, v38, v6
	v_add_f16_e32 v20, v36, v20
	v_fma_f16 v21, v51, s27, v61
	v_add_f16_e32 v84, v85, v84
	v_fma_f16 v85, v55, s26, v66
	v_mul_f16_e32 v70, 0xbbad, v70
	v_add_f16_e32 v6, v39, v6
	v_add_f16_e32 v20, v21, v20
	v_fma_f16 v21, v53, s16, v63
	v_add_f16_e32 v84, v85, v84
	v_fma_f16 v85, v57, s20, v70
	v_mul_f16_e32 v58, 0xb853, v58
	v_add_f16_e32 v6, v40, v6
	v_add_f16_e32 v20, v21, v20
	v_fma_f16 v21, v55, s18, v66
	v_add_f16_e32 v84, v85, v84
	v_fma_f16 v85, v48, s21, v58
	v_mul_f16_e32 v60, 0xbb47, v60
	v_add_f16_e32 v6, v41, v6
	v_add_f16_e32 v20, v21, v20
	v_fma_f16 v21, v57, s24, v70
	v_add_f16_e32 v85, v15, v85
	v_fma_f16 v86, v50, s19, v60
	v_mul_f16_e32 v62, 0xbbeb, v62
	v_add_f16_e32 v6, v42, v6
	v_add_f16_e32 v20, v21, v20
	v_fma_f16 v21, v48, s21, -v58
	v_add_f16_e32 v85, v86, v85
	v_fma_f16 v86, v52, s14, v62
	v_mul_f16_e32 v64, 0xba0c, v64
	v_add_f16_e32 v6, v43, v6
	v_add_f16_e32 v15, v15, v21
	v_fma_f16 v21, v50, s19, -v60
	v_add_f16_e32 v85, v86, v85
	v_fma_f16 v86, v54, s15, v64
	v_mul_f16_e32 v67, 0xb482, v67
	v_add_f16_e32 v6, v44, v6
	v_add_f16_e32 v15, v21, v15
	v_fma_f16 v21, v52, s14, -v62
	v_add_f16_e32 v85, v86, v85
	v_fma_f16 v86, v56, s17, v67
	v_add_f16_e32 v6, v31, v6
	v_add_f16_e32 v15, v21, v15
	v_fma_f16 v21, v54, s15, -v64
	v_add_f16_e32 v85, v86, v85
	v_add_f16_e32 v5, v29, v5
	;; [unrolled: 1-line block ×4, first 2 shown]
	v_fma_f16 v21, v56, s17, -v67
	v_fma_f16 v120, v56, s14, v119
	v_add_f16_e32 v15, v21, v15
	v_lshl_add_u32 v21, v28, 2, v27
	v_pack_b32_f16 v22, v85, v84
	v_pack_b32_f16 v5, v5, v6
	v_add_f16_e32 v115, v120, v115
	ds_write2_b32 v21, v5, v22 offset1:1
	v_pack_b32_f16 v5, v65, v68
	v_pack_b32_f16 v6, v79, v72
	ds_write2_b32 v21, v6, v5 offset0:2 offset1:3
	v_pack_b32_f16 v5, v71, v74
	v_pack_b32_f16 v6, v115, v109
	s_mov_b32 s14, 0x5040100
	ds_write2_b32 v21, v5, v6 offset0:4 offset1:5
	v_pack_b32_f16 v5, v17, v16
	v_perm_b32 v6, v47, v23, s14
	ds_write2_b32 v21, v5, v6 offset0:6 offset1:7
	v_pack_b32_f16 v5, v19, v18
	v_perm_b32 v6, v46, v45, s14
	ds_write2_b32 v21, v6, v5 offset0:8 offset1:9
	v_pack_b32_f16 v5, v15, v20
	ds_write_b32 v21, v5 offset:40
.LBB0_17:
	s_or_b64 exec, exec, s[4:5]
	s_waitcnt lgkmcnt(0)
	s_barrier
	ds_read2_b32 v[5:6], v30 offset1:33
	ds_read2_b32 v[15:16], v30 offset0:66 offset1:99
	ds_read2_b32 v[17:18], v30 offset0:132 offset1:165
	ds_read_b32 v20, v30 offset:792
	s_movk_i32 s4, 0x2b26
	s_waitcnt lgkmcnt(3)
	v_lshrrev_b32_e32 v19, 16, v6
	v_mul_f16_sdwa v31, v0, v19 dst_sel:DWORD dst_unused:UNUSED_PAD src0_sel:WORD_1 src1_sel:DWORD
	s_waitcnt lgkmcnt(2)
	v_lshrrev_b32_e32 v21, 16, v15
	v_fma_f16 v31, v0, v6, v31
	v_mul_f16_sdwa v6, v0, v6 dst_sel:DWORD dst_unused:UNUSED_PAD src0_sel:WORD_1 src1_sel:DWORD
	v_fma_f16 v0, v0, v19, -v6
	v_mul_f16_sdwa v6, v1, v21 dst_sel:DWORD dst_unused:UNUSED_PAD src0_sel:WORD_1 src1_sel:DWORD
	v_lshrrev_b32_e32 v22, 16, v16
	v_fma_f16 v6, v1, v15, v6
	v_mul_f16_sdwa v15, v1, v15 dst_sel:DWORD dst_unused:UNUSED_PAD src0_sel:WORD_1 src1_sel:DWORD
	v_fma_f16 v1, v1, v21, -v15
	v_mul_f16_sdwa v15, v2, v22 dst_sel:DWORD dst_unused:UNUSED_PAD src0_sel:WORD_1 src1_sel:DWORD
	s_waitcnt lgkmcnt(1)
	v_lshrrev_b32_e32 v27, 16, v17
	v_fma_f16 v15, v2, v16, v15
	v_mul_f16_sdwa v16, v2, v16 dst_sel:DWORD dst_unused:UNUSED_PAD src0_sel:WORD_1 src1_sel:DWORD
	v_fma_f16 v2, v2, v22, -v16
	v_mul_f16_sdwa v16, v3, v27 dst_sel:DWORD dst_unused:UNUSED_PAD src0_sel:WORD_1 src1_sel:DWORD
	v_lshrrev_b32_e32 v28, 16, v18
	v_fma_f16 v16, v3, v17, v16
	v_mul_f16_sdwa v17, v3, v17 dst_sel:DWORD dst_unused:UNUSED_PAD src0_sel:WORD_1 src1_sel:DWORD
	v_fma_f16 v3, v3, v27, -v17
	v_mul_f16_sdwa v17, v7, v28 dst_sel:DWORD dst_unused:UNUSED_PAD src0_sel:WORD_1 src1_sel:DWORD
	s_waitcnt lgkmcnt(0)
	v_lshrrev_b32_e32 v29, 16, v20
	v_fma_f16 v17, v7, v18, v17
	v_mul_f16_sdwa v18, v7, v18 dst_sel:DWORD dst_unused:UNUSED_PAD src0_sel:WORD_1 src1_sel:DWORD
	v_fma_f16 v7, v7, v28, -v18
	v_mul_f16_sdwa v18, v8, v29 dst_sel:DWORD dst_unused:UNUSED_PAD src0_sel:WORD_1 src1_sel:DWORD
	v_mul_f16_sdwa v19, v8, v20 dst_sel:DWORD dst_unused:UNUSED_PAD src0_sel:WORD_1 src1_sel:DWORD
	v_fma_f16 v18, v8, v20, v18
	v_fma_f16 v8, v8, v29, -v19
	v_add_f16_e32 v19, v31, v18
	v_add_f16_e32 v20, v0, v8
	v_sub_f16_e32 v0, v0, v8
	v_add_f16_e32 v8, v6, v17
	v_add_f16_e32 v21, v1, v7
	v_sub_f16_e32 v6, v6, v17
	v_sub_f16_e32 v1, v1, v7
	v_add_f16_e32 v7, v15, v16
	v_add_f16_e32 v17, v2, v3
	v_sub_f16_e32 v15, v16, v15
	v_sub_f16_e32 v18, v31, v18
	;; [unrolled: 1-line block ×3, first 2 shown]
	v_add_f16_e32 v3, v8, v19
	v_add_f16_e32 v16, v21, v20
	v_sub_f16_e32 v22, v8, v19
	v_sub_f16_e32 v27, v21, v20
	;; [unrolled: 1-line block ×4, first 2 shown]
	v_add_f16_e32 v28, v15, v6
	v_sub_f16_e32 v8, v7, v8
	v_sub_f16_e32 v21, v17, v21
	;; [unrolled: 1-line block ×5, first 2 shown]
	v_add_f16_e32 v3, v7, v3
	v_add_f16_e32 v7, v17, v16
	;; [unrolled: 1-line block ×3, first 2 shown]
	v_mul_f16_e32 v18, 0x3a52, v19
	v_mul_f16_e32 v19, 0x3a52, v20
	;; [unrolled: 1-line block ×4, first 2 shown]
	v_fma_f16 v8, v8, s4, v18
	v_fma_f16 v21, v21, s4, v19
	s_movk_i32 s4, 0x39e0
	v_add_f16_e32 v29, v2, v1
	v_sub_f16_e32 v32, v2, v1
	v_fma_f16 v20, v22, s4, -v20
	v_fma_f16 v28, v27, s4, -v28
	s_mov_b32 s4, 0xb9e0
	v_sub_f16_e32 v2, v0, v2
	v_sub_f16_e32 v1, v1, v0
	v_add_f16_e32 v0, v29, v0
	v_mul_f16_e32 v29, 0x3846, v31
	v_mul_f16_e32 v31, 0x3846, v32
	v_fma_f16 v18, v22, s4, -v18
	v_fma_f16 v19, v27, s4, -v19
	s_mov_b32 s4, 0xb574
	v_add_f16_e32 v17, v5, v3
	v_add_f16_sdwa v5, v5, v7 dst_sel:DWORD dst_unused:UNUSED_PAD src0_sel:WORD_1 src1_sel:DWORD
	s_mov_b32 s5, 0xbb00
	v_mul_f16_e32 v32, 0xbb00, v6
	v_mul_f16_e32 v36, 0xbb00, v1
	s_mov_b32 s14, 0xbcab
	v_fma_f16 v22, v15, s4, v29
	v_fma_f16 v27, v2, s4, v31
	s_movk_i32 s4, 0x3574
	v_fma_f16 v3, v3, s14, v17
	v_fma_f16 v7, v7, s14, v5
	v_fma_f16 v6, v6, s5, -v29
	v_fma_f16 v1, v1, s5, -v31
	;; [unrolled: 1-line block ×4, first 2 shown]
	s_mov_b32 s4, 0xb70e
	v_add_f16_e32 v8, v8, v3
	v_add_f16_e32 v21, v21, v7
	;; [unrolled: 1-line block ×6, first 2 shown]
	v_fma_f16 v18, v16, s4, v22
	v_fma_f16 v19, v0, s4, v27
	;; [unrolled: 1-line block ×6, first 2 shown]
	v_add_f16_e32 v2, v19, v8
	v_sub_f16_e32 v16, v21, v18
	v_add_f16_e32 v27, v0, v3
	v_sub_f16_e32 v31, v20, v1
	v_add_f16_e32 v32, v6, v28
	v_add_f16_e32 v1, v1, v20
	v_sub_f16_e32 v6, v28, v6
	v_sub_f16_e32 v0, v3, v0
	v_add_f16_e32 v3, v15, v7
	v_sub_f16_e32 v29, v7, v15
	v_sub_f16_e32 v22, v8, v19
	v_add_f16_e32 v7, v18, v21
	v_pack_b32_f16 v5, v17, v5
	v_pack_b32_f16 v2, v2, v16
	;; [unrolled: 1-line block ×4, first 2 shown]
	s_barrier
	ds_write2_b32 v34, v5, v2 offset1:11
	v_pack_b32_f16 v2, v27, v29
	v_pack_b32_f16 v5, v31, v32
	ds_write2_b32 v34, v1, v0 offset0:44 offset1:55
	v_pack_b32_f16 v0, v22, v7
	ds_write2_b32 v34, v2, v5 offset0:22 offset1:33
	ds_write_b32 v34, v0 offset:264
	s_waitcnt lgkmcnt(0)
	s_barrier
	ds_read2_b32 v[0:1], v30 offset1:33
	ds_read2_b32 v[5:6], v30 offset0:77 offset1:110
	ds_read2_b32 v[2:3], v30 offset0:154 offset1:187
	v_add_u32_e32 v8, 0x84, v35
	s_and_saveexec_b64 s[4:5], s[2:3]
	s_cbranch_execz .LBB0_19
; %bb.18:
	ds_read2_b32 v[22:23], v30 offset0:66 offset1:143
	ds_read_b32 v45, v30 offset:880
	s_waitcnt lgkmcnt(1)
	v_lshrrev_b32_e32 v7, 16, v22
	v_lshrrev_b32_e32 v47, 16, v23
	s_waitcnt lgkmcnt(0)
	v_lshrrev_b32_e32 v46, 16, v45
.LBB0_19:
	s_or_b64 exec, exec, s[4:5]
	s_waitcnt lgkmcnt(1)
	v_lshrrev_b32_e32 v16, 16, v5
	v_mul_f16_sdwa v21, v11, v16 dst_sel:DWORD dst_unused:UNUSED_PAD src0_sel:WORD_1 src1_sel:DWORD
	s_waitcnt lgkmcnt(0)
	v_lshrrev_b32_e32 v17, 16, v2
	v_fma_f16 v21, v11, v5, v21
	v_mul_f16_sdwa v5, v11, v5 dst_sel:DWORD dst_unused:UNUSED_PAD src0_sel:WORD_1 src1_sel:DWORD
	v_fma_f16 v5, v11, v16, -v5
	v_mul_f16_sdwa v11, v12, v17 dst_sel:DWORD dst_unused:UNUSED_PAD src0_sel:WORD_1 src1_sel:DWORD
	v_lshrrev_b32_e32 v19, 16, v6
	v_fma_f16 v11, v12, v2, v11
	v_mul_f16_sdwa v2, v12, v2 dst_sel:DWORD dst_unused:UNUSED_PAD src0_sel:WORD_1 src1_sel:DWORD
	v_fma_f16 v2, v12, v17, -v2
	v_mul_f16_sdwa v12, v13, v19 dst_sel:DWORD dst_unused:UNUSED_PAD src0_sel:WORD_1 src1_sel:DWORD
	;; [unrolled: 5-line block ×3, first 2 shown]
	v_fma_f16 v13, v14, v3, v13
	v_mul_f16_sdwa v3, v14, v3 dst_sel:DWORD dst_unused:UNUSED_PAD src0_sel:WORD_1 src1_sel:DWORD
	v_add_f16_e32 v16, v21, v11
	v_lshrrev_b32_e32 v15, 16, v0
	v_fma_f16 v3, v14, v20, -v3
	v_add_f16_e32 v14, v0, v21
	v_fma_f16 v0, v16, -0.5, v0
	v_sub_f16_e32 v16, v5, v2
	s_mov_b32 s14, 0xbaee
	s_movk_i32 s15, 0x3aee
	v_fma_f16 v17, v16, s14, v0
	v_fma_f16 v0, v16, s15, v0
	v_add_f16_e32 v16, v15, v5
	v_add_f16_e32 v16, v16, v2
	;; [unrolled: 1-line block ×3, first 2 shown]
	v_fma_f16 v2, v2, -0.5, v15
	v_sub_f16_e32 v5, v21, v11
	v_add_f16_e32 v15, v12, v13
	v_lshrrev_b32_e32 v18, 16, v1
	v_add_f16_e32 v14, v14, v11
	v_fma_f16 v11, v5, s15, v2
	v_fma_f16 v2, v5, s14, v2
	v_add_f16_e32 v5, v1, v12
	v_fma_f16 v1, v15, -0.5, v1
	v_sub_f16_e32 v15, v6, v3
	v_fma_f16 v19, v15, s14, v1
	v_fma_f16 v1, v15, s15, v1
	v_add_f16_e32 v15, v18, v6
	v_add_f16_e32 v15, v15, v3
	;; [unrolled: 1-line block ×4, first 2 shown]
	v_fma_f16 v3, v3, -0.5, v18
	v_sub_f16_e32 v6, v12, v13
	v_pack_b32_f16 v11, v17, v11
	v_pack_b32_f16 v0, v0, v2
	v_fma_f16 v12, v6, s15, v3
	v_fma_f16 v3, v6, s14, v3
	v_pack_b32_f16 v6, v14, v16
	ds_write2_b32 v33, v11, v0 offset0:77 offset1:154
	v_pack_b32_f16 v0, v5, v15
	ds_write2_b32 v33, v6, v0 offset1:33
	v_pack_b32_f16 v0, v19, v12
	v_pack_b32_f16 v1, v1, v3
	ds_write2_b32 v8, v0, v1 offset0:77 offset1:154
	v_lshl_add_u32 v8, v26, 2, v24
	s_and_saveexec_b64 s[4:5], s[2:3]
	s_cbranch_execz .LBB0_21
; %bb.20:
	v_mul_f16_sdwa v0, v9, v23 dst_sel:DWORD dst_unused:UNUSED_PAD src0_sel:WORD_1 src1_sel:DWORD
	v_mul_f16_sdwa v1, v10, v45 dst_sel:DWORD dst_unused:UNUSED_PAD src0_sel:WORD_1 src1_sel:DWORD
	v_fma_f16 v0, v9, v47, -v0
	v_fma_f16 v1, v10, v46, -v1
	v_mul_f16_sdwa v3, v9, v47 dst_sel:DWORD dst_unused:UNUSED_PAD src0_sel:WORD_1 src1_sel:DWORD
	v_mul_f16_sdwa v5, v10, v46 dst_sel:DWORD dst_unused:UNUSED_PAD src0_sel:WORD_1 src1_sel:DWORD
	v_add_f16_e32 v2, v0, v1
	v_fma_f16 v3, v9, v23, v3
	v_fma_f16 v5, v10, v45, v5
	v_fma_f16 v2, v2, -0.5, v7
	v_sub_f16_e32 v6, v3, v5
	v_fma_f16 v9, v6, s14, v2
	v_fma_f16 v2, v6, s15, v2
	v_add_f16_e32 v6, v7, v0
	v_add_f16_e32 v7, v3, v5
	v_fma_f16 v7, v7, -0.5, v22
	v_sub_f16_e32 v0, v0, v1
	v_add_f16_e32 v3, v22, v3
	v_add_f16_e32 v6, v6, v1
	v_fma_f16 v1, v0, s15, v7
	v_fma_f16 v0, v0, s14, v7
	v_add_f16_e32 v3, v3, v5
	v_pack_b32_f16 v3, v3, v6
	v_pack_b32_f16 v0, v0, v2
	ds_write2_b32 v8, v3, v0 offset0:66 offset1:143
	v_pack_b32_f16 v0, v1, v9
	ds_write_b32 v8, v0 offset:880
.LBB0_21:
	s_or_b64 exec, exec, s[4:5]
	s_waitcnt lgkmcnt(0)
	s_barrier
	s_and_b64 exec, exec, s[0:1]
	s_cbranch_execz .LBB0_23
; %bb.22:
	global_load_dword v11, v24, s[6:7]
	global_load_dword v10, v24, s[6:7] offset:84
	v_mad_u64_u32 v[2:3], s[0:1], s10, v4, 0
	ds_read_b32 v17, v33
	v_mad_u64_u32 v[5:6], s[0:1], s8, v25, 0
	v_mad_u64_u32 v[3:4], s[0:1], s11, v4, v[3:4]
	s_waitcnt lgkmcnt(0)
	v_lshrrev_b32_e32 v4, 16, v17
	v_mov_b32_e32 v7, 0x7c00
	ds_read2_b32 v[0:1], v8 offset0:21 offset1:42
	v_mad_u64_u32 v[19:20], s[0:1], s9, v25, v[6:7]
	s_mov_b32 s14, 0x4046ed29
	s_mov_b32 s15, 0x3f71bb4a
	s_movk_i32 s18, 0x1ff
	global_load_dword v12, v24, s[6:7] offset:168
	global_load_dword v13, v24, s[6:7] offset:252
	;; [unrolled: 1-line block ×6, first 2 shown]
	s_movk_i32 s17, 0xffe
	v_mov_b32_e32 v6, v19
	s_movk_i32 s16, 0x40f
	s_mov_b32 s10, 0x8000
	v_lshlrev_b64 v[2:3], 2, v[2:3]
	s_waitcnt vmcnt(7)
	v_mul_f16_sdwa v18, v4, v11 dst_sel:DWORD dst_unused:UNUSED_PAD src0_sel:DWORD src1_sel:WORD_1
	v_fma_f16 v18, v17, v11, v18
	v_mul_f16_sdwa v17, v17, v11 dst_sel:DWORD dst_unused:UNUSED_PAD src0_sel:DWORD src1_sel:WORD_1
	v_cvt_f32_f16_e32 v18, v18
	v_fma_f16 v4, v11, v4, -v17
	v_cvt_f32_f16_e32 v4, v4
	s_waitcnt lgkmcnt(0)
	v_lshrrev_b32_e32 v11, 16, v0
	v_cvt_f64_f32_e32 v[17:18], v18
	v_cvt_f64_f32_e32 v[20:21], v4
	s_waitcnt vmcnt(6)
	v_mul_f16_sdwa v4, v11, v10 dst_sel:DWORD dst_unused:UNUSED_PAD src0_sel:DWORD src1_sel:WORD_1
	v_mul_f64 v[17:18], v[17:18], s[14:15]
	v_fma_f16 v4, v0, v10, v4
	v_mul_f64 v[20:21], v[20:21], s[14:15]
	v_cvt_f32_f16_e32 v4, v4
	v_mul_f16_sdwa v0, v0, v10 dst_sel:DWORD dst_unused:UNUSED_PAD src0_sel:DWORD src1_sel:WORD_1
	v_fma_f16 v0, v10, v11, -v0
	v_cvt_f32_f16_e32 v0, v0
	v_cvt_f64_f32_e32 v[22:23], v4
	v_and_or_b32 v4, v18, s18, v17
	v_cmp_ne_u32_e32 vcc, 0, v4
	v_and_or_b32 v20, v21, s18, v20
	v_lshrrev_b32_e32 v17, 8, v18
	v_bfe_u32 v19, v18, 20, 11
	v_cndmask_b32_e64 v4, 0, 1, vcc
	v_cmp_ne_u32_e32 vcc, 0, v20
	v_lshrrev_b32_e32 v25, 8, v21
	v_bfe_u32 v26, v21, 20, 11
	v_sub_u32_e32 v27, 0x3f1, v19
	v_cndmask_b32_e64 v20, 0, 1, vcc
	v_and_or_b32 v4, v17, s17, v4
	v_sub_u32_e32 v28, 0x3f1, v26
	v_med3_i32 v17, v27, 0, 13
	v_and_or_b32 v20, v25, s17, v20
	v_or_b32_e32 v27, 0x1000, v4
	v_add_u32_e32 v19, 0xfffffc10, v19
	v_med3_i32 v25, v28, 0, 13
	v_cmp_ne_u32_e32 vcc, 0, v4
	v_or_b32_e32 v29, 0x1000, v20
	v_lshrrev_b32_e32 v31, v17, v27
	v_add_u32_e32 v26, 0xfffffc10, v26
	v_lshl_or_b32 v28, v19, 12, v4
	v_cndmask_b32_e64 v4, 0, 1, vcc
	v_cmp_ne_u32_e32 vcc, 0, v20
	v_lshrrev_b32_e32 v32, v25, v29
	v_lshlrev_b32_e32 v17, v17, v31
	v_lshl_or_b32 v30, v26, 12, v20
	v_cndmask_b32_e64 v20, 0, 1, vcc
	v_lshlrev_b32_e32 v25, v25, v32
	v_cmp_ne_u32_e32 vcc, v17, v27
	v_cndmask_b32_e64 v17, 0, 1, vcc
	v_cmp_ne_u32_e32 vcc, v25, v29
	v_cndmask_b32_e64 v25, 0, 1, vcc
	v_or_b32_e32 v17, v31, v17
	v_cmp_gt_i32_e32 vcc, 1, v19
	v_cndmask_b32_e32 v17, v28, v17, vcc
	v_or_b32_e32 v25, v32, v25
	v_cmp_gt_i32_e32 vcc, 1, v26
	v_and_b32_e32 v27, 7, v17
	v_cndmask_b32_e32 v25, v30, v25, vcc
	v_cmp_lt_i32_e32 vcc, 5, v27
	v_cmp_eq_u32_e64 s[0:1], 3, v27
	v_lshrrev_b32_e32 v17, 2, v17
	v_and_b32_e32 v28, 7, v25
	s_or_b64 vcc, s[0:1], vcc
	v_cmp_lt_i32_e64 s[2:3], 5, v28
	v_cmp_eq_u32_e64 s[4:5], 3, v28
	v_addc_co_u32_e32 v17, vcc, 0, v17, vcc
	v_lshrrev_b32_e32 v25, 2, v25
	s_or_b64 vcc, s[4:5], s[2:3]
	v_addc_co_u32_e32 v25, vcc, 0, v25, vcc
	v_cmp_gt_i32_e32 vcc, 31, v19
	v_cndmask_b32_e32 v17, v7, v17, vcc
	v_cmp_gt_i32_e32 vcc, 31, v26
	v_lshl_or_b32 v4, v4, 9, v7
	v_cndmask_b32_e32 v25, v7, v25, vcc
	v_cmp_eq_u32_e32 vcc, s16, v19
	v_lshrrev_b32_e32 v18, 16, v18
	v_lshl_or_b32 v20, v20, 9, v7
	v_cndmask_b32_e32 v4, v17, v4, vcc
	v_cmp_eq_u32_e32 vcc, s16, v26
	v_lshrrev_b32_e32 v21, 16, v21
	v_cndmask_b32_e32 v17, v25, v20, vcc
	v_and_or_b32 v4, v18, s10, v4
	v_and_or_b32 v17, v21, s10, v17
	v_and_b32_e32 v4, 0xffff, v4
	v_lshl_or_b32 v4, v17, 16, v4
	v_mul_f64 v[17:18], v[22:23], s[14:15]
	v_mov_b32_e32 v19, s13
	v_add_co_u32_e32 v20, vcc, s12, v2
	v_addc_co_u32_e32 v19, vcc, v19, v3, vcc
	v_lshlrev_b64 v[2:3], 2, v[5:6]
	s_mul_hi_u32 s2, s8, 0x54
	v_add_co_u32_e32 v2, vcc, v20, v2
	v_addc_co_u32_e32 v3, vcc, v19, v3, vcc
	global_store_dword v[2:3], v4, off
	v_and_or_b32 v4, v18, s18, v17
	v_cmp_ne_u32_e32 vcc, 0, v4
	v_cndmask_b32_e64 v4, 0, 1, vcc
	v_lshrrev_b32_e32 v5, 8, v18
	v_and_or_b32 v6, v5, s17, v4
	v_bfe_u32 v5, v18, 20, 11
	v_sub_u32_e32 v17, 0x3f1, v5
	v_or_b32_e32 v4, 0x1000, v6
	v_med3_i32 v17, v17, 0, 13
	v_lshrrev_b32_e32 v19, v17, v4
	v_lshlrev_b32_e32 v17, v17, v19
	v_cmp_ne_u32_e32 vcc, v17, v4
	v_cndmask_b32_e64 v4, 0, 1, vcc
	v_add_u32_e32 v17, 0xfffffc10, v5
	v_or_b32_e32 v4, v19, v4
	v_lshl_or_b32 v5, v17, 12, v6
	v_cmp_gt_i32_e32 vcc, 1, v17
	v_cndmask_b32_e32 v4, v5, v4, vcc
	v_and_b32_e32 v5, 7, v4
	v_cmp_lt_i32_e32 vcc, 5, v5
	v_cmp_eq_u32_e64 s[0:1], 3, v5
	v_lshrrev_b32_e32 v10, 2, v4
	v_cvt_f64_f32_e32 v[4:5], v0
	s_or_b64 vcc, s[0:1], vcc
	v_addc_co_u32_e32 v0, vcc, 0, v10, vcc
	v_mul_f64 v[4:5], v[4:5], s[14:15]
	v_cmp_gt_i32_e32 vcc, 31, v17
	v_cndmask_b32_e32 v0, v7, v0, vcc
	v_cmp_ne_u32_e32 vcc, 0, v6
	v_cndmask_b32_e64 v6, 0, 1, vcc
	v_lshl_or_b32 v6, v6, 9, v7
	v_cmp_eq_u32_e32 vcc, s16, v17
	v_cndmask_b32_e32 v0, v0, v6, vcc
	v_and_or_b32 v4, v5, s18, v4
	v_lshrrev_b32_e32 v6, 16, v18
	v_cmp_ne_u32_e32 vcc, 0, v4
	v_and_or_b32 v0, v6, s10, v0
	v_cndmask_b32_e64 v4, 0, 1, vcc
	v_lshrrev_b32_e32 v6, 8, v5
	v_bfe_u32 v10, v5, 20, 11
	v_and_or_b32 v4, v6, s17, v4
	v_sub_u32_e32 v11, 0x3f1, v10
	v_or_b32_e32 v6, 0x1000, v4
	v_med3_i32 v11, v11, 0, 13
	v_lshrrev_b32_e32 v17, v11, v6
	v_lshlrev_b32_e32 v11, v11, v17
	v_cmp_ne_u32_e32 vcc, v11, v6
	v_cndmask_b32_e64 v6, 0, 1, vcc
	v_add_u32_e32 v10, 0xfffffc10, v10
	v_or_b32_e32 v6, v17, v6
	v_lshl_or_b32 v11, v10, 12, v4
	v_cmp_gt_i32_e32 vcc, 1, v10
	v_cndmask_b32_e32 v6, v11, v6, vcc
	v_and_b32_e32 v11, 7, v6
	v_cmp_lt_i32_e32 vcc, 5, v11
	v_cmp_eq_u32_e64 s[0:1], 3, v11
	v_lshrrev_b32_e32 v6, 2, v6
	s_or_b64 vcc, s[0:1], vcc
	v_addc_co_u32_e32 v6, vcc, 0, v6, vcc
	v_cmp_gt_i32_e32 vcc, 31, v10
	v_cndmask_b32_e32 v6, v7, v6, vcc
	v_cmp_ne_u32_e32 vcc, 0, v4
	v_cndmask_b32_e64 v4, 0, 1, vcc
	v_lshl_or_b32 v4, v4, 9, v7
	v_cmp_eq_u32_e32 vcc, s16, v10
	v_cndmask_b32_e32 v4, v6, v4, vcc
	v_lshrrev_b32_e32 v6, 16, v1
	s_waitcnt vmcnt(6)
	v_mul_f16_sdwa v10, v6, v12 dst_sel:DWORD dst_unused:UNUSED_PAD src0_sel:DWORD src1_sel:WORD_1
	v_fma_f16 v10, v1, v12, v10
	v_cvt_f32_f16_e32 v10, v10
	v_lshrrev_b32_e32 v5, 16, v5
	v_and_or_b32 v4, v5, s10, v4
	v_and_b32_e32 v0, 0xffff, v0
	v_lshl_or_b32 v0, v4, 16, v0
	v_cvt_f64_f32_e32 v[4:5], v10
	s_mul_i32 s0, s9, 0x54
	s_add_i32 s2, s2, s0
	s_mul_i32 s3, s8, 0x54
	v_mul_f64 v[4:5], v[4:5], s[14:15]
	v_mov_b32_e32 v10, s2
	v_add_co_u32_e32 v2, vcc, s3, v2
	v_addc_co_u32_e32 v3, vcc, v3, v10, vcc
	global_store_dword v[2:3], v0, off
	v_mul_f16_sdwa v1, v1, v12 dst_sel:DWORD dst_unused:UNUSED_PAD src0_sel:DWORD src1_sel:WORD_1
	v_and_or_b32 v0, v5, s18, v4
	v_cmp_ne_u32_e32 vcc, 0, v0
	v_cndmask_b32_e64 v0, 0, 1, vcc
	v_lshrrev_b32_e32 v4, 8, v5
	v_bfe_u32 v10, v5, 20, 11
	v_and_or_b32 v4, v4, s17, v0
	v_sub_u32_e32 v11, 0x3f1, v10
	v_or_b32_e32 v0, 0x1000, v4
	v_med3_i32 v11, v11, 0, 13
	v_lshrrev_b32_e32 v17, v11, v0
	v_lshlrev_b32_e32 v11, v11, v17
	v_fma_f16 v1, v12, v6, -v1
	v_cmp_ne_u32_e32 vcc, v11, v0
	v_cvt_f32_f16_e32 v1, v1
	v_cndmask_b32_e64 v0, 0, 1, vcc
	v_add_u32_e32 v10, 0xfffffc10, v10
	v_or_b32_e32 v0, v17, v0
	v_lshl_or_b32 v11, v10, 12, v4
	v_cmp_gt_i32_e32 vcc, 1, v10
	v_cndmask_b32_e32 v0, v11, v0, vcc
	v_and_b32_e32 v11, 7, v0
	v_lshrrev_b32_e32 v6, 2, v0
	v_cvt_f64_f32_e32 v[0:1], v1
	v_cmp_lt_i32_e32 vcc, 5, v11
	v_cmp_eq_u32_e64 s[0:1], 3, v11
	s_or_b64 vcc, s[0:1], vcc
	v_mul_f64 v[0:1], v[0:1], s[14:15]
	v_addc_co_u32_e32 v6, vcc, 0, v6, vcc
	v_cmp_gt_i32_e32 vcc, 31, v10
	v_cndmask_b32_e32 v6, v7, v6, vcc
	v_cmp_ne_u32_e32 vcc, 0, v4
	v_cndmask_b32_e64 v4, 0, 1, vcc
	v_lshl_or_b32 v4, v4, 9, v7
	v_cmp_eq_u32_e32 vcc, s16, v10
	v_and_or_b32 v0, v1, s18, v0
	v_cndmask_b32_e32 v4, v6, v4, vcc
	v_lshrrev_b32_e32 v5, 16, v5
	v_cmp_ne_u32_e32 vcc, 0, v0
	v_and_or_b32 v6, v5, s10, v4
	v_cndmask_b32_e64 v0, 0, 1, vcc
	v_lshrrev_b32_e32 v4, 8, v1
	v_bfe_u32 v5, v1, 20, 11
	v_and_or_b32 v0, v4, s17, v0
	v_sub_u32_e32 v10, 0x3f1, v5
	v_or_b32_e32 v4, 0x1000, v0
	v_med3_i32 v10, v10, 0, 13
	v_lshrrev_b32_e32 v11, v10, v4
	v_lshlrev_b32_e32 v10, v10, v11
	v_cmp_ne_u32_e32 vcc, v10, v4
	v_cndmask_b32_e64 v4, 0, 1, vcc
	v_add_u32_e32 v10, 0xfffffc10, v5
	v_or_b32_e32 v4, v11, v4
	v_lshl_or_b32 v5, v10, 12, v0
	v_cmp_gt_i32_e32 vcc, 1, v10
	v_cndmask_b32_e32 v4, v5, v4, vcc
	v_and_b32_e32 v5, 7, v4
	v_cmp_lt_i32_e32 vcc, 5, v5
	v_cmp_eq_u32_e64 s[0:1], 3, v5
	v_lshrrev_b32_e32 v4, 2, v4
	s_or_b64 vcc, s[0:1], vcc
	v_addc_co_u32_e32 v11, vcc, 0, v4, vcc
	ds_read2_b32 v[4:5], v8 offset0:63 offset1:84
	v_cmp_gt_i32_e32 vcc, 31, v10
	v_cndmask_b32_e32 v11, v7, v11, vcc
	v_cmp_ne_u32_e32 vcc, 0, v0
	v_cndmask_b32_e64 v0, 0, 1, vcc
	s_waitcnt lgkmcnt(0)
	v_lshrrev_b32_e32 v12, 16, v4
	s_waitcnt vmcnt(6)
	v_mul_f16_sdwa v17, v12, v13 dst_sel:DWORD dst_unused:UNUSED_PAD src0_sel:DWORD src1_sel:WORD_1
	v_fma_f16 v17, v4, v13, v17
	v_cvt_f32_f16_e32 v17, v17
	v_lshl_or_b32 v0, v0, 9, v7
	v_cmp_eq_u32_e32 vcc, s16, v10
	v_cndmask_b32_e32 v0, v11, v0, vcc
	v_cvt_f64_f32_e32 v[10:11], v17
	v_lshrrev_b32_e32 v1, 16, v1
	v_and_or_b32 v17, v1, s10, v0
	v_add_co_u32_e32 v2, vcc, s3, v2
	v_mul_f64 v[0:1], v[10:11], s[14:15]
	v_mov_b32_e32 v10, s2
	v_and_b32_e32 v6, 0xffff, v6
	v_addc_co_u32_e32 v3, vcc, v3, v10, vcc
	v_lshl_or_b32 v6, v17, 16, v6
	global_store_dword v[2:3], v6, off
	v_mul_f16_sdwa v4, v4, v13 dst_sel:DWORD dst_unused:UNUSED_PAD src0_sel:DWORD src1_sel:WORD_1
	v_and_or_b32 v0, v1, s18, v0
	v_cmp_ne_u32_e32 vcc, 0, v0
	v_cndmask_b32_e64 v0, 0, 1, vcc
	v_lshrrev_b32_e32 v6, 8, v1
	v_bfe_u32 v10, v1, 20, 11
	v_and_or_b32 v0, v6, s17, v0
	v_sub_u32_e32 v11, 0x3f1, v10
	v_or_b32_e32 v6, 0x1000, v0
	v_med3_i32 v11, v11, 0, 13
	v_lshrrev_b32_e32 v17, v11, v6
	v_lshlrev_b32_e32 v11, v11, v17
	v_cmp_ne_u32_e32 vcc, v11, v6
	v_cndmask_b32_e64 v6, 0, 1, vcc
	v_fma_f16 v4, v13, v12, -v4
	v_or_b32_e32 v6, v17, v6
	v_add_u32_e32 v17, 0xfffffc10, v10
	v_cvt_f32_f16_e32 v4, v4
	v_lshl_or_b32 v10, v17, 12, v0
	v_cmp_gt_i32_e32 vcc, 1, v17
	v_cndmask_b32_e32 v6, v10, v6, vcc
	v_and_b32_e32 v10, 7, v6
	v_cmp_lt_i32_e32 vcc, 5, v10
	v_cmp_eq_u32_e64 s[0:1], 3, v10
	v_cvt_f64_f32_e32 v[10:11], v4
	v_lshrrev_b32_e32 v6, 2, v6
	s_or_b64 vcc, s[0:1], vcc
	v_addc_co_u32_e32 v4, vcc, 0, v6, vcc
	v_mul_f64 v[10:11], v[10:11], s[14:15]
	v_cmp_gt_i32_e32 vcc, 31, v17
	v_cndmask_b32_e32 v4, v7, v4, vcc
	v_cmp_ne_u32_e32 vcc, 0, v0
	v_cndmask_b32_e64 v0, 0, 1, vcc
	v_lshl_or_b32 v0, v0, 9, v7
	v_cmp_eq_u32_e32 vcc, s16, v17
	v_cndmask_b32_e32 v0, v4, v0, vcc
	v_lshrrev_b32_e32 v1, 16, v1
	v_and_or_b32 v4, v1, s10, v0
	v_and_or_b32 v0, v11, s18, v10
	v_cmp_ne_u32_e32 vcc, 0, v0
	v_cndmask_b32_e64 v0, 0, 1, vcc
	v_lshrrev_b32_e32 v1, 8, v11
	v_bfe_u32 v6, v11, 20, 11
	v_and_or_b32 v0, v1, s17, v0
	v_sub_u32_e32 v10, 0x3f1, v6
	v_or_b32_e32 v1, 0x1000, v0
	v_med3_i32 v10, v10, 0, 13
	v_lshrrev_b32_e32 v12, v10, v1
	v_lshlrev_b32_e32 v10, v10, v12
	v_cmp_ne_u32_e32 vcc, v10, v1
	v_cndmask_b32_e64 v1, 0, 1, vcc
	v_add_u32_e32 v6, 0xfffffc10, v6
	v_or_b32_e32 v1, v12, v1
	v_lshl_or_b32 v10, v6, 12, v0
	v_cmp_gt_i32_e32 vcc, 1, v6
	v_cndmask_b32_e32 v1, v10, v1, vcc
	v_and_b32_e32 v10, 7, v1
	v_cmp_lt_i32_e32 vcc, 5, v10
	v_cmp_eq_u32_e64 s[0:1], 3, v10
	v_lshrrev_b32_e32 v10, 16, v5
	v_lshrrev_b32_e32 v1, 2, v1
	s_or_b64 vcc, s[0:1], vcc
	s_waitcnt vmcnt(6)
	v_mul_f16_sdwa v12, v10, v14 dst_sel:DWORD dst_unused:UNUSED_PAD src0_sel:DWORD src1_sel:WORD_1
	v_addc_co_u32_e32 v1, vcc, 0, v1, vcc
	v_fma_f16 v12, v5, v14, v12
	v_cmp_gt_i32_e32 vcc, 31, v6
	v_cvt_f32_f16_e32 v12, v12
	v_cndmask_b32_e32 v1, v7, v1, vcc
	v_cmp_ne_u32_e32 vcc, 0, v0
	v_cndmask_b32_e64 v0, 0, 1, vcc
	v_lshl_or_b32 v0, v0, 9, v7
	v_cmp_eq_u32_e32 vcc, s16, v6
	v_cndmask_b32_e32 v6, v1, v0, vcc
	v_cvt_f64_f32_e32 v[0:1], v12
	v_lshrrev_b32_e32 v11, 16, v11
	v_and_or_b32 v6, v11, s10, v6
	v_and_b32_e32 v4, 0xffff, v4
	v_mul_f64 v[0:1], v[0:1], s[14:15]
	v_lshl_or_b32 v4, v6, 16, v4
	v_mov_b32_e32 v6, s2
	v_add_co_u32_e32 v2, vcc, s3, v2
	v_addc_co_u32_e32 v3, vcc, v3, v6, vcc
	global_store_dword v[2:3], v4, off
	v_and_or_b32 v0, v1, s18, v0
	v_cmp_ne_u32_e32 vcc, 0, v0
	v_cndmask_b32_e64 v0, 0, 1, vcc
	v_lshrrev_b32_e32 v4, 8, v1
	v_bfe_u32 v6, v1, 20, 11
	v_and_or_b32 v0, v4, s17, v0
	v_sub_u32_e32 v11, 0x3f1, v6
	v_or_b32_e32 v4, 0x1000, v0
	v_med3_i32 v11, v11, 0, 13
	v_lshrrev_b32_e32 v12, v11, v4
	v_mul_f16_sdwa v5, v5, v14 dst_sel:DWORD dst_unused:UNUSED_PAD src0_sel:DWORD src1_sel:WORD_1
	v_lshlrev_b32_e32 v11, v11, v12
	v_fma_f16 v5, v14, v10, -v5
	v_cmp_ne_u32_e32 vcc, v11, v4
	v_cvt_f32_f16_e32 v5, v5
	v_cndmask_b32_e64 v4, 0, 1, vcc
	v_add_u32_e32 v6, 0xfffffc10, v6
	v_or_b32_e32 v4, v12, v4
	v_lshl_or_b32 v11, v6, 12, v0
	v_cmp_gt_i32_e32 vcc, 1, v6
	v_cndmask_b32_e32 v4, v11, v4, vcc
	v_and_b32_e32 v11, 7, v4
	v_lshrrev_b32_e32 v10, 2, v4
	v_cvt_f64_f32_e32 v[4:5], v5
	v_cmp_lt_i32_e32 vcc, 5, v11
	v_cmp_eq_u32_e64 s[0:1], 3, v11
	s_or_b64 vcc, s[0:1], vcc
	v_mul_f64 v[4:5], v[4:5], s[14:15]
	v_addc_co_u32_e32 v10, vcc, 0, v10, vcc
	v_cmp_gt_i32_e32 vcc, 31, v6
	v_cndmask_b32_e32 v10, v7, v10, vcc
	v_cmp_ne_u32_e32 vcc, 0, v0
	v_cndmask_b32_e64 v0, 0, 1, vcc
	v_lshl_or_b32 v0, v0, 9, v7
	v_cmp_eq_u32_e32 vcc, s16, v6
	v_cndmask_b32_e32 v0, v10, v0, vcc
	v_lshrrev_b32_e32 v1, 16, v1
	v_and_or_b32 v6, v1, s10, v0
	v_and_or_b32 v0, v5, s18, v4
	v_cmp_ne_u32_e32 vcc, 0, v0
	v_cndmask_b32_e64 v0, 0, 1, vcc
	v_lshrrev_b32_e32 v1, 8, v5
	v_and_or_b32 v4, v1, s17, v0
	v_bfe_u32 v1, v5, 20, 11
	v_sub_u32_e32 v10, 0x3f1, v1
	v_or_b32_e32 v0, 0x1000, v4
	v_med3_i32 v10, v10, 0, 13
	v_lshrrev_b32_e32 v11, v10, v0
	v_lshlrev_b32_e32 v10, v10, v11
	v_cmp_ne_u32_e32 vcc, v10, v0
	v_cndmask_b32_e64 v0, 0, 1, vcc
	v_add_u32_e32 v10, 0xfffffc10, v1
	v_or_b32_e32 v0, v11, v0
	v_lshl_or_b32 v1, v10, 12, v4
	v_cmp_gt_i32_e32 vcc, 1, v10
	v_cndmask_b32_e32 v0, v1, v0, vcc
	v_and_b32_e32 v1, 7, v0
	v_cmp_lt_i32_e32 vcc, 5, v1
	v_cmp_eq_u32_e64 s[0:1], 3, v1
	v_lshrrev_b32_e32 v0, 2, v0
	s_or_b64 vcc, s[0:1], vcc
	v_addc_co_u32_e32 v11, vcc, 0, v0, vcc
	ds_read2_b32 v[0:1], v8 offset0:105 offset1:126
	v_cmp_gt_i32_e32 vcc, 31, v10
	v_cndmask_b32_e32 v11, v7, v11, vcc
	v_cmp_ne_u32_e32 vcc, 0, v4
	v_cndmask_b32_e64 v4, 0, 1, vcc
	s_waitcnt lgkmcnt(0)
	v_lshrrev_b32_e32 v12, 16, v0
	s_waitcnt vmcnt(6)
	v_mul_f16_sdwa v13, v12, v15 dst_sel:DWORD dst_unused:UNUSED_PAD src0_sel:DWORD src1_sel:WORD_1
	v_fma_f16 v13, v0, v15, v13
	v_cvt_f32_f16_e32 v13, v13
	v_lshl_or_b32 v4, v4, 9, v7
	v_cmp_eq_u32_e32 vcc, s16, v10
	v_cndmask_b32_e32 v4, v11, v4, vcc
	v_cvt_f64_f32_e32 v[10:11], v13
	v_lshrrev_b32_e32 v5, 16, v5
	v_and_or_b32 v13, v5, s10, v4
	v_add_co_u32_e32 v2, vcc, s3, v2
	v_mul_f64 v[4:5], v[10:11], s[14:15]
	v_mov_b32_e32 v10, s2
	v_and_b32_e32 v6, 0xffff, v6
	v_addc_co_u32_e32 v3, vcc, v3, v10, vcc
	v_lshl_or_b32 v6, v13, 16, v6
	global_store_dword v[2:3], v6, off
	v_mul_f16_sdwa v0, v0, v15 dst_sel:DWORD dst_unused:UNUSED_PAD src0_sel:DWORD src1_sel:WORD_1
	v_and_or_b32 v4, v5, s18, v4
	v_cmp_ne_u32_e32 vcc, 0, v4
	v_cndmask_b32_e64 v4, 0, 1, vcc
	v_lshrrev_b32_e32 v6, 8, v5
	v_bfe_u32 v10, v5, 20, 11
	v_and_or_b32 v4, v6, s17, v4
	v_sub_u32_e32 v11, 0x3f1, v10
	v_or_b32_e32 v6, 0x1000, v4
	v_med3_i32 v11, v11, 0, 13
	v_lshrrev_b32_e32 v13, v11, v6
	v_lshlrev_b32_e32 v11, v11, v13
	v_cmp_ne_u32_e32 vcc, v11, v6
	v_cndmask_b32_e64 v6, 0, 1, vcc
	v_fma_f16 v0, v15, v12, -v0
	v_or_b32_e32 v6, v13, v6
	v_add_u32_e32 v13, 0xfffffc10, v10
	v_cvt_f32_f16_e32 v0, v0
	v_lshl_or_b32 v10, v13, 12, v4
	v_cmp_gt_i32_e32 vcc, 1, v13
	v_cndmask_b32_e32 v6, v10, v6, vcc
	v_and_b32_e32 v10, 7, v6
	v_cmp_lt_i32_e32 vcc, 5, v10
	v_cmp_eq_u32_e64 s[0:1], 3, v10
	v_cvt_f64_f32_e32 v[10:11], v0
	v_lshrrev_b32_e32 v6, 2, v6
	s_or_b64 vcc, s[0:1], vcc
	v_addc_co_u32_e32 v0, vcc, 0, v6, vcc
	v_mul_f64 v[10:11], v[10:11], s[14:15]
	v_cmp_gt_i32_e32 vcc, 31, v13
	v_cndmask_b32_e32 v0, v7, v0, vcc
	v_cmp_ne_u32_e32 vcc, 0, v4
	v_cndmask_b32_e64 v4, 0, 1, vcc
	v_lshl_or_b32 v4, v4, 9, v7
	v_cmp_eq_u32_e32 vcc, s16, v13
	v_cndmask_b32_e32 v0, v0, v4, vcc
	v_lshrrev_b32_e32 v4, 16, v5
	v_and_or_b32 v0, v4, s10, v0
	v_and_or_b32 v4, v11, s18, v10
	v_cmp_ne_u32_e32 vcc, 0, v4
	v_cndmask_b32_e64 v4, 0, 1, vcc
	v_lshrrev_b32_e32 v5, 8, v11
	v_bfe_u32 v6, v11, 20, 11
	v_and_or_b32 v4, v5, s17, v4
	v_sub_u32_e32 v10, 0x3f1, v6
	v_or_b32_e32 v5, 0x1000, v4
	v_med3_i32 v10, v10, 0, 13
	v_lshrrev_b32_e32 v12, v10, v5
	v_lshlrev_b32_e32 v10, v10, v12
	v_cmp_ne_u32_e32 vcc, v10, v5
	v_cndmask_b32_e64 v5, 0, 1, vcc
	v_add_u32_e32 v6, 0xfffffc10, v6
	v_or_b32_e32 v5, v12, v5
	v_lshl_or_b32 v10, v6, 12, v4
	v_cmp_gt_i32_e32 vcc, 1, v6
	v_cndmask_b32_e32 v5, v10, v5, vcc
	v_and_b32_e32 v10, 7, v5
	v_cmp_lt_i32_e32 vcc, 5, v10
	v_cmp_eq_u32_e64 s[0:1], 3, v10
	v_lshrrev_b32_e32 v10, 16, v1
	v_lshrrev_b32_e32 v5, 2, v5
	s_or_b64 vcc, s[0:1], vcc
	s_waitcnt vmcnt(6)
	v_mul_f16_sdwa v12, v10, v16 dst_sel:DWORD dst_unused:UNUSED_PAD src0_sel:DWORD src1_sel:WORD_1
	v_addc_co_u32_e32 v5, vcc, 0, v5, vcc
	v_fma_f16 v12, v1, v16, v12
	v_cmp_gt_i32_e32 vcc, 31, v6
	v_cvt_f32_f16_e32 v12, v12
	v_cndmask_b32_e32 v5, v7, v5, vcc
	v_cmp_ne_u32_e32 vcc, 0, v4
	v_cndmask_b32_e64 v4, 0, 1, vcc
	v_lshl_or_b32 v4, v4, 9, v7
	v_cmp_eq_u32_e32 vcc, s16, v6
	v_cndmask_b32_e32 v6, v5, v4, vcc
	v_cvt_f64_f32_e32 v[4:5], v12
	v_lshrrev_b32_e32 v11, 16, v11
	v_and_or_b32 v6, v11, s10, v6
	v_and_b32_e32 v0, 0xffff, v0
	v_mul_f64 v[4:5], v[4:5], s[14:15]
	v_lshl_or_b32 v0, v6, 16, v0
	v_mov_b32_e32 v6, s2
	v_add_co_u32_e32 v2, vcc, s3, v2
	v_addc_co_u32_e32 v3, vcc, v3, v6, vcc
	global_store_dword v[2:3], v0, off
	v_and_or_b32 v0, v5, s18, v4
	v_cmp_ne_u32_e32 vcc, 0, v0
	v_cndmask_b32_e64 v0, 0, 1, vcc
	v_lshrrev_b32_e32 v4, 8, v5
	v_bfe_u32 v6, v5, 20, 11
	v_and_or_b32 v4, v4, s17, v0
	v_sub_u32_e32 v11, 0x3f1, v6
	v_or_b32_e32 v0, 0x1000, v4
	v_med3_i32 v11, v11, 0, 13
	v_lshrrev_b32_e32 v12, v11, v0
	v_mul_f16_sdwa v1, v1, v16 dst_sel:DWORD dst_unused:UNUSED_PAD src0_sel:DWORD src1_sel:WORD_1
	v_lshlrev_b32_e32 v11, v11, v12
	v_fma_f16 v1, v16, v10, -v1
	v_cmp_ne_u32_e32 vcc, v11, v0
	v_cvt_f32_f16_e32 v1, v1
	v_cndmask_b32_e64 v0, 0, 1, vcc
	v_add_u32_e32 v6, 0xfffffc10, v6
	v_or_b32_e32 v0, v12, v0
	v_lshl_or_b32 v11, v6, 12, v4
	v_cmp_gt_i32_e32 vcc, 1, v6
	v_cndmask_b32_e32 v0, v11, v0, vcc
	v_and_b32_e32 v11, 7, v0
	v_lshrrev_b32_e32 v10, 2, v0
	v_cvt_f64_f32_e32 v[0:1], v1
	v_cmp_lt_i32_e32 vcc, 5, v11
	v_cmp_eq_u32_e64 s[0:1], 3, v11
	s_or_b64 vcc, s[0:1], vcc
	v_mul_f64 v[0:1], v[0:1], s[14:15]
	v_addc_co_u32_e32 v10, vcc, 0, v10, vcc
	v_cmp_gt_i32_e32 vcc, 31, v6
	v_cndmask_b32_e32 v10, v7, v10, vcc
	v_cmp_ne_u32_e32 vcc, 0, v4
	v_cndmask_b32_e64 v4, 0, 1, vcc
	v_lshl_or_b32 v4, v4, 9, v7
	v_cmp_eq_u32_e32 vcc, s16, v6
	v_and_or_b32 v0, v1, s18, v0
	v_cndmask_b32_e32 v4, v10, v4, vcc
	v_lshrrev_b32_e32 v5, 16, v5
	v_cmp_ne_u32_e32 vcc, 0, v0
	v_and_or_b32 v6, v5, s10, v4
	v_cndmask_b32_e64 v0, 0, 1, vcc
	v_lshrrev_b32_e32 v4, 8, v1
	v_bfe_u32 v5, v1, 20, 11
	v_and_or_b32 v0, v4, s17, v0
	v_sub_u32_e32 v10, 0x3f1, v5
	v_or_b32_e32 v4, 0x1000, v0
	v_med3_i32 v10, v10, 0, 13
	v_lshrrev_b32_e32 v11, v10, v4
	v_lshlrev_b32_e32 v10, v10, v11
	v_cmp_ne_u32_e32 vcc, v10, v4
	v_cndmask_b32_e64 v4, 0, 1, vcc
	v_add_u32_e32 v10, 0xfffffc10, v5
	v_or_b32_e32 v4, v11, v4
	v_lshl_or_b32 v5, v10, 12, v0
	v_cmp_gt_i32_e32 vcc, 1, v10
	v_cndmask_b32_e32 v4, v5, v4, vcc
	v_and_b32_e32 v5, 7, v4
	v_cmp_lt_i32_e32 vcc, 5, v5
	v_cmp_eq_u32_e64 s[0:1], 3, v5
	v_lshrrev_b32_e32 v4, 2, v4
	s_or_b64 vcc, s[0:1], vcc
	v_addc_co_u32_e32 v11, vcc, 0, v4, vcc
	v_cmp_gt_i32_e32 vcc, 31, v10
	v_cndmask_b32_e32 v11, v7, v11, vcc
	v_cmp_ne_u32_e32 vcc, 0, v0
	v_cndmask_b32_e64 v0, 0, 1, vcc
	v_lshl_or_b32 v0, v0, 9, v7
	v_cmp_eq_u32_e32 vcc, s16, v10
	v_cndmask_b32_e32 v10, v11, v0, vcc
	v_lshrrev_b32_e32 v11, 16, v1
	v_and_or_b32 v10, v11, s10, v10
	global_load_dword v11, v24, s[6:7] offset:672
	ds_read2_b32 v[4:5], v8 offset0:147 offset1:168
	v_and_b32_e32 v6, 0xffff, v6
	v_lshl_or_b32 v6, v10, 16, v6
	v_mov_b32_e32 v10, s2
	v_add_co_u32_e32 v2, vcc, s3, v2
	s_waitcnt lgkmcnt(0)
	v_lshrrev_b32_e32 v12, 16, v4
	s_waitcnt vmcnt(7)
	v_mul_f16_sdwa v13, v12, v9 dst_sel:DWORD dst_unused:UNUSED_PAD src0_sel:DWORD src1_sel:WORD_1
	v_fma_f16 v13, v4, v9, v13
	v_cvt_f32_f16_e32 v13, v13
	v_addc_co_u32_e32 v3, vcc, v3, v10, vcc
	global_store_dword v[2:3], v6, off
	v_cvt_f64_f32_e32 v[0:1], v13
	v_mul_f16_sdwa v4, v4, v9 dst_sel:DWORD dst_unused:UNUSED_PAD src0_sel:DWORD src1_sel:WORD_1
	v_fma_f16 v4, v9, v12, -v4
	v_cvt_f32_f16_e32 v4, v4
	v_mul_f64 v[0:1], v[0:1], s[14:15]
	v_and_or_b32 v0, v1, s18, v0
	v_cmp_ne_u32_e32 vcc, 0, v0
	v_cndmask_b32_e64 v0, 0, 1, vcc
	v_lshrrev_b32_e32 v6, 8, v1
	v_bfe_u32 v10, v1, 20, 11
	v_and_or_b32 v0, v6, s17, v0
	v_sub_u32_e32 v13, 0x3f1, v10
	v_or_b32_e32 v6, 0x1000, v0
	v_med3_i32 v13, v13, 0, 13
	v_lshrrev_b32_e32 v14, v13, v6
	v_lshlrev_b32_e32 v13, v13, v14
	v_cmp_ne_u32_e32 vcc, v13, v6
	v_cndmask_b32_e64 v6, 0, 1, vcc
	v_add_u32_e32 v13, 0xfffffc10, v10
	v_or_b32_e32 v6, v14, v6
	v_lshl_or_b32 v10, v13, 12, v0
	v_cmp_gt_i32_e32 vcc, 1, v13
	v_cndmask_b32_e32 v6, v10, v6, vcc
	v_and_b32_e32 v10, 7, v6
	v_cmp_lt_i32_e32 vcc, 5, v10
	v_cmp_eq_u32_e64 s[0:1], 3, v10
	v_cvt_f64_f32_e32 v[9:10], v4
	v_lshrrev_b32_e32 v6, 2, v6
	s_or_b64 vcc, s[0:1], vcc
	v_addc_co_u32_e32 v4, vcc, 0, v6, vcc
	v_mul_f64 v[9:10], v[9:10], s[14:15]
	v_cmp_gt_i32_e32 vcc, 31, v13
	v_cndmask_b32_e32 v4, v7, v4, vcc
	v_cmp_ne_u32_e32 vcc, 0, v0
	v_cndmask_b32_e64 v0, 0, 1, vcc
	v_lshl_or_b32 v0, v0, 9, v7
	v_cmp_eq_u32_e32 vcc, s16, v13
	v_cndmask_b32_e32 v0, v4, v0, vcc
	v_lshrrev_b32_e32 v1, 16, v1
	v_and_or_b32 v4, v1, s10, v0
	v_and_or_b32 v0, v10, s18, v9
	v_cmp_ne_u32_e32 vcc, 0, v0
	v_cndmask_b32_e64 v0, 0, 1, vcc
	v_lshrrev_b32_e32 v1, 8, v10
	v_bfe_u32 v6, v10, 20, 11
	v_and_or_b32 v0, v1, s17, v0
	v_sub_u32_e32 v9, 0x3f1, v6
	v_or_b32_e32 v1, 0x1000, v0
	v_med3_i32 v9, v9, 0, 13
	v_lshrrev_b32_e32 v12, v9, v1
	v_lshlrev_b32_e32 v9, v9, v12
	v_cmp_ne_u32_e32 vcc, v9, v1
	v_cndmask_b32_e64 v1, 0, 1, vcc
	v_or_b32_e32 v1, v12, v1
	global_load_dword v12, v24, s[6:7] offset:756
	global_load_dword v13, v24, s[6:7] offset:840
	v_add_u32_e32 v6, 0xfffffc10, v6
	v_lshl_or_b32 v9, v6, 12, v0
	v_cmp_gt_i32_e32 vcc, 1, v6
	v_cndmask_b32_e32 v1, v9, v1, vcc
	v_and_b32_e32 v9, 7, v1
	v_cmp_lt_i32_e32 vcc, 5, v9
	v_cmp_eq_u32_e64 s[0:1], 3, v9
	v_lshrrev_b32_e32 v9, 16, v5
	v_lshrrev_b32_e32 v1, 2, v1
	s_or_b64 vcc, s[0:1], vcc
	s_waitcnt vmcnt(3)
	v_mul_f16_sdwa v14, v9, v11 dst_sel:DWORD dst_unused:UNUSED_PAD src0_sel:DWORD src1_sel:WORD_1
	v_addc_co_u32_e32 v1, vcc, 0, v1, vcc
	v_fma_f16 v14, v5, v11, v14
	v_cmp_gt_i32_e32 vcc, 31, v6
	v_cvt_f32_f16_e32 v14, v14
	v_cndmask_b32_e32 v1, v7, v1, vcc
	v_cmp_ne_u32_e32 vcc, 0, v0
	v_cndmask_b32_e64 v0, 0, 1, vcc
	v_lshl_or_b32 v0, v0, 9, v7
	v_cmp_eq_u32_e32 vcc, s16, v6
	v_cndmask_b32_e32 v6, v1, v0, vcc
	v_cvt_f64_f32_e32 v[0:1], v14
	v_lshrrev_b32_e32 v10, 16, v10
	v_and_or_b32 v6, v10, s10, v6
	v_and_b32_e32 v4, 0xffff, v4
	v_mul_f64 v[0:1], v[0:1], s[14:15]
	v_lshl_or_b32 v4, v6, 16, v4
	v_mov_b32_e32 v6, s2
	v_add_co_u32_e32 v2, vcc, s3, v2
	v_addc_co_u32_e32 v3, vcc, v3, v6, vcc
	global_store_dword v[2:3], v4, off
	v_and_or_b32 v0, v1, s18, v0
	v_cmp_ne_u32_e32 vcc, 0, v0
	v_cndmask_b32_e64 v0, 0, 1, vcc
	v_lshrrev_b32_e32 v4, 8, v1
	v_bfe_u32 v6, v1, 20, 11
	v_and_or_b32 v0, v4, s17, v0
	v_sub_u32_e32 v10, 0x3f1, v6
	v_or_b32_e32 v4, 0x1000, v0
	v_med3_i32 v10, v10, 0, 13
	v_lshrrev_b32_e32 v14, v10, v4
	v_mul_f16_sdwa v5, v5, v11 dst_sel:DWORD dst_unused:UNUSED_PAD src0_sel:DWORD src1_sel:WORD_1
	v_lshlrev_b32_e32 v10, v10, v14
	v_fma_f16 v5, v11, v9, -v5
	v_cmp_ne_u32_e32 vcc, v10, v4
	v_cvt_f32_f16_e32 v5, v5
	v_cndmask_b32_e64 v4, 0, 1, vcc
	v_add_u32_e32 v6, 0xfffffc10, v6
	v_or_b32_e32 v4, v14, v4
	v_lshl_or_b32 v10, v6, 12, v0
	v_cmp_gt_i32_e32 vcc, 1, v6
	v_cndmask_b32_e32 v4, v10, v4, vcc
	v_and_b32_e32 v10, 7, v4
	v_lshrrev_b32_e32 v9, 2, v4
	v_cvt_f64_f32_e32 v[4:5], v5
	v_cmp_lt_i32_e32 vcc, 5, v10
	v_cmp_eq_u32_e64 s[0:1], 3, v10
	s_or_b64 vcc, s[0:1], vcc
	v_mul_f64 v[4:5], v[4:5], s[14:15]
	v_addc_co_u32_e32 v9, vcc, 0, v9, vcc
	v_cmp_gt_i32_e32 vcc, 31, v6
	v_cndmask_b32_e32 v9, v7, v9, vcc
	v_cmp_ne_u32_e32 vcc, 0, v0
	v_cndmask_b32_e64 v0, 0, 1, vcc
	v_lshl_or_b32 v0, v0, 9, v7
	v_cmp_eq_u32_e32 vcc, s16, v6
	v_cndmask_b32_e32 v0, v9, v0, vcc
	v_lshrrev_b32_e32 v1, 16, v1
	v_and_or_b32 v6, v1, s10, v0
	v_and_or_b32 v0, v5, s18, v4
	v_cmp_ne_u32_e32 vcc, 0, v0
	v_cndmask_b32_e64 v0, 0, 1, vcc
	v_lshrrev_b32_e32 v1, 8, v5
	v_and_or_b32 v4, v1, s17, v0
	v_bfe_u32 v1, v5, 20, 11
	v_sub_u32_e32 v9, 0x3f1, v1
	v_or_b32_e32 v0, 0x1000, v4
	v_med3_i32 v9, v9, 0, 13
	v_lshrrev_b32_e32 v10, v9, v0
	v_lshlrev_b32_e32 v9, v9, v10
	v_cmp_ne_u32_e32 vcc, v9, v0
	v_cndmask_b32_e64 v0, 0, 1, vcc
	v_add_u32_e32 v9, 0xfffffc10, v1
	v_or_b32_e32 v0, v10, v0
	v_lshl_or_b32 v1, v9, 12, v4
	v_cmp_gt_i32_e32 vcc, 1, v9
	v_cndmask_b32_e32 v0, v1, v0, vcc
	v_and_b32_e32 v1, 7, v0
	v_cmp_lt_i32_e32 vcc, 5, v1
	v_cmp_eq_u32_e64 s[0:1], 3, v1
	v_lshrrev_b32_e32 v0, 2, v0
	s_or_b64 vcc, s[0:1], vcc
	v_addc_co_u32_e32 v10, vcc, 0, v0, vcc
	ds_read2_b32 v[0:1], v8 offset0:189 offset1:210
	v_cmp_gt_i32_e32 vcc, 31, v9
	v_cndmask_b32_e32 v8, v7, v10, vcc
	v_cmp_ne_u32_e32 vcc, 0, v4
	v_cndmask_b32_e64 v4, 0, 1, vcc
	s_waitcnt lgkmcnt(0)
	v_lshrrev_b32_e32 v10, 16, v0
	s_waitcnt vmcnt(2)
	v_mul_f16_sdwa v11, v10, v12 dst_sel:DWORD dst_unused:UNUSED_PAD src0_sel:DWORD src1_sel:WORD_1
	v_fma_f16 v11, v0, v12, v11
	v_cvt_f32_f16_e32 v11, v11
	v_lshl_or_b32 v4, v4, 9, v7
	v_cmp_eq_u32_e32 vcc, s16, v9
	v_cndmask_b32_e32 v4, v8, v4, vcc
	v_cvt_f64_f32_e32 v[8:9], v11
	v_lshrrev_b32_e32 v5, 16, v5
	v_and_or_b32 v11, v5, s10, v4
	v_add_co_u32_e32 v2, vcc, s3, v2
	v_mul_f64 v[4:5], v[8:9], s[14:15]
	v_mov_b32_e32 v8, s2
	v_and_b32_e32 v6, 0xffff, v6
	v_addc_co_u32_e32 v3, vcc, v3, v8, vcc
	v_lshl_or_b32 v6, v11, 16, v6
	global_store_dword v[2:3], v6, off
	v_mul_f16_sdwa v0, v0, v12 dst_sel:DWORD dst_unused:UNUSED_PAD src0_sel:DWORD src1_sel:WORD_1
	v_and_or_b32 v4, v5, s18, v4
	v_cmp_ne_u32_e32 vcc, 0, v4
	v_cndmask_b32_e64 v4, 0, 1, vcc
	v_lshrrev_b32_e32 v6, 8, v5
	v_bfe_u32 v8, v5, 20, 11
	v_and_or_b32 v4, v6, s17, v4
	v_sub_u32_e32 v9, 0x3f1, v8
	v_or_b32_e32 v6, 0x1000, v4
	v_med3_i32 v9, v9, 0, 13
	v_lshrrev_b32_e32 v11, v9, v6
	v_lshlrev_b32_e32 v9, v9, v11
	v_cmp_ne_u32_e32 vcc, v9, v6
	v_cndmask_b32_e64 v6, 0, 1, vcc
	v_fma_f16 v0, v12, v10, -v0
	v_or_b32_e32 v6, v11, v6
	v_add_u32_e32 v11, 0xfffffc10, v8
	v_cvt_f32_f16_e32 v0, v0
	v_lshl_or_b32 v8, v11, 12, v4
	v_cmp_gt_i32_e32 vcc, 1, v11
	v_cndmask_b32_e32 v6, v8, v6, vcc
	v_and_b32_e32 v8, 7, v6
	v_cmp_lt_i32_e32 vcc, 5, v8
	v_cmp_eq_u32_e64 s[0:1], 3, v8
	v_cvt_f64_f32_e32 v[8:9], v0
	v_lshrrev_b32_e32 v6, 2, v6
	s_or_b64 vcc, s[0:1], vcc
	v_addc_co_u32_e32 v0, vcc, 0, v6, vcc
	v_mul_f64 v[8:9], v[8:9], s[14:15]
	v_cmp_gt_i32_e32 vcc, 31, v11
	v_cndmask_b32_e32 v0, v7, v0, vcc
	v_cmp_ne_u32_e32 vcc, 0, v4
	v_cndmask_b32_e64 v4, 0, 1, vcc
	v_lshl_or_b32 v4, v4, 9, v7
	v_cmp_eq_u32_e32 vcc, s16, v11
	v_cndmask_b32_e32 v0, v0, v4, vcc
	v_lshrrev_b32_e32 v4, 16, v5
	v_and_or_b32 v0, v4, s10, v0
	v_and_or_b32 v4, v9, s18, v8
	v_cmp_ne_u32_e32 vcc, 0, v4
	v_cndmask_b32_e64 v4, 0, 1, vcc
	v_lshrrev_b32_e32 v5, 8, v9
	v_bfe_u32 v6, v9, 20, 11
	v_and_or_b32 v4, v5, s17, v4
	v_sub_u32_e32 v8, 0x3f1, v6
	v_or_b32_e32 v5, 0x1000, v4
	v_med3_i32 v8, v8, 0, 13
	v_lshrrev_b32_e32 v10, v8, v5
	v_lshlrev_b32_e32 v8, v8, v10
	v_cmp_ne_u32_e32 vcc, v8, v5
	v_cndmask_b32_e64 v5, 0, 1, vcc
	v_add_u32_e32 v6, 0xfffffc10, v6
	v_or_b32_e32 v5, v10, v5
	v_lshl_or_b32 v8, v6, 12, v4
	v_cmp_gt_i32_e32 vcc, 1, v6
	v_cndmask_b32_e32 v5, v8, v5, vcc
	v_and_b32_e32 v8, 7, v5
	v_cmp_lt_i32_e32 vcc, 5, v8
	v_cmp_eq_u32_e64 s[0:1], 3, v8
	v_lshrrev_b32_e32 v8, 16, v1
	v_lshrrev_b32_e32 v5, 2, v5
	s_or_b64 vcc, s[0:1], vcc
	s_waitcnt vmcnt(2)
	v_mul_f16_sdwa v10, v8, v13 dst_sel:DWORD dst_unused:UNUSED_PAD src0_sel:DWORD src1_sel:WORD_1
	v_addc_co_u32_e32 v5, vcc, 0, v5, vcc
	v_fma_f16 v10, v1, v13, v10
	v_cmp_gt_i32_e32 vcc, 31, v6
	v_cvt_f32_f16_e32 v10, v10
	v_cndmask_b32_e32 v5, v7, v5, vcc
	v_cmp_ne_u32_e32 vcc, 0, v4
	v_cndmask_b32_e64 v4, 0, 1, vcc
	v_lshl_or_b32 v4, v4, 9, v7
	v_cmp_eq_u32_e32 vcc, s16, v6
	v_cndmask_b32_e32 v6, v5, v4, vcc
	v_cvt_f64_f32_e32 v[4:5], v10
	v_lshrrev_b32_e32 v9, 16, v9
	v_and_or_b32 v6, v9, s10, v6
	v_and_b32_e32 v0, 0xffff, v0
	v_mul_f64 v[4:5], v[4:5], s[14:15]
	v_lshl_or_b32 v0, v6, 16, v0
	v_mov_b32_e32 v6, s2
	v_add_co_u32_e32 v2, vcc, s3, v2
	v_addc_co_u32_e32 v3, vcc, v3, v6, vcc
	global_store_dword v[2:3], v0, off
	v_and_or_b32 v0, v5, s18, v4
	v_cmp_ne_u32_e32 vcc, 0, v0
	v_cndmask_b32_e64 v0, 0, 1, vcc
	v_lshrrev_b32_e32 v4, 8, v5
	v_bfe_u32 v6, v5, 20, 11
	v_and_or_b32 v4, v4, s17, v0
	v_sub_u32_e32 v9, 0x3f1, v6
	v_or_b32_e32 v0, 0x1000, v4
	v_med3_i32 v9, v9, 0, 13
	v_lshrrev_b32_e32 v10, v9, v0
	v_mul_f16_sdwa v1, v1, v13 dst_sel:DWORD dst_unused:UNUSED_PAD src0_sel:DWORD src1_sel:WORD_1
	v_lshlrev_b32_e32 v9, v9, v10
	v_fma_f16 v1, v13, v8, -v1
	v_cmp_ne_u32_e32 vcc, v9, v0
	v_cvt_f32_f16_e32 v1, v1
	v_cndmask_b32_e64 v0, 0, 1, vcc
	v_add_u32_e32 v6, 0xfffffc10, v6
	v_or_b32_e32 v0, v10, v0
	v_lshl_or_b32 v9, v6, 12, v4
	v_cmp_gt_i32_e32 vcc, 1, v6
	v_cndmask_b32_e32 v0, v9, v0, vcc
	v_and_b32_e32 v9, 7, v0
	v_lshrrev_b32_e32 v8, 2, v0
	v_cvt_f64_f32_e32 v[0:1], v1
	v_cmp_lt_i32_e32 vcc, 5, v9
	v_cmp_eq_u32_e64 s[0:1], 3, v9
	s_or_b64 vcc, s[0:1], vcc
	v_mul_f64 v[0:1], v[0:1], s[14:15]
	v_addc_co_u32_e32 v8, vcc, 0, v8, vcc
	v_cmp_gt_i32_e32 vcc, 31, v6
	v_cndmask_b32_e32 v8, v7, v8, vcc
	v_cmp_ne_u32_e32 vcc, 0, v4
	v_cndmask_b32_e64 v4, 0, 1, vcc
	v_lshl_or_b32 v4, v4, 9, v7
	v_cmp_eq_u32_e32 vcc, s16, v6
	v_and_or_b32 v0, v1, s18, v0
	v_cndmask_b32_e32 v4, v8, v4, vcc
	v_lshrrev_b32_e32 v5, 16, v5
	v_cmp_ne_u32_e32 vcc, 0, v0
	v_and_or_b32 v4, v5, s10, v4
	v_cndmask_b32_e64 v0, 0, 1, vcc
	v_lshrrev_b32_e32 v5, 8, v1
	v_bfe_u32 v6, v1, 20, 11
	v_and_or_b32 v0, v5, s17, v0
	v_sub_u32_e32 v8, 0x3f1, v6
	v_or_b32_e32 v5, 0x1000, v0
	v_med3_i32 v8, v8, 0, 13
	v_lshrrev_b32_e32 v9, v8, v5
	v_lshlrev_b32_e32 v8, v8, v9
	v_cmp_ne_u32_e32 vcc, v8, v5
	v_cndmask_b32_e64 v5, 0, 1, vcc
	v_add_u32_e32 v6, 0xfffffc10, v6
	v_or_b32_e32 v5, v9, v5
	v_lshl_or_b32 v8, v6, 12, v0
	v_cmp_gt_i32_e32 vcc, 1, v6
	v_cndmask_b32_e32 v5, v8, v5, vcc
	v_and_b32_e32 v8, 7, v5
	v_cmp_lt_i32_e32 vcc, 5, v8
	v_cmp_eq_u32_e64 s[0:1], 3, v8
	v_lshrrev_b32_e32 v5, 2, v5
	s_or_b64 vcc, s[0:1], vcc
	v_addc_co_u32_e32 v5, vcc, 0, v5, vcc
	v_cmp_gt_i32_e32 vcc, 31, v6
	v_cndmask_b32_e32 v5, v7, v5, vcc
	v_cmp_ne_u32_e32 vcc, 0, v0
	v_cndmask_b32_e64 v0, 0, 1, vcc
	v_lshl_or_b32 v0, v0, 9, v7
	v_cmp_eq_u32_e32 vcc, s16, v6
	v_cndmask_b32_e32 v0, v5, v0, vcc
	v_lshrrev_b32_e32 v1, 16, v1
	v_and_or_b32 v0, v1, s10, v0
	v_and_b32_e32 v1, 0xffff, v4
	v_lshl_or_b32 v4, v0, 16, v1
	v_mov_b32_e32 v1, s2
	v_add_co_u32_e32 v0, vcc, s3, v2
	v_addc_co_u32_e32 v1, vcc, v3, v1, vcc
	global_store_dword v[0:1], v4, off
.LBB0_23:
	s_endpgm
	.section	.rodata,"a",@progbits
	.p2align	6, 0x0
	.amdhsa_kernel bluestein_single_fwd_len231_dim1_half_op_CI_CI
		.amdhsa_group_segment_fixed_size 6468
		.amdhsa_private_segment_fixed_size 0
		.amdhsa_kernarg_size 104
		.amdhsa_user_sgpr_count 6
		.amdhsa_user_sgpr_private_segment_buffer 1
		.amdhsa_user_sgpr_dispatch_ptr 0
		.amdhsa_user_sgpr_queue_ptr 0
		.amdhsa_user_sgpr_kernarg_segment_ptr 1
		.amdhsa_user_sgpr_dispatch_id 0
		.amdhsa_user_sgpr_flat_scratch_init 0
		.amdhsa_user_sgpr_private_segment_size 0
		.amdhsa_uses_dynamic_stack 0
		.amdhsa_system_sgpr_private_segment_wavefront_offset 0
		.amdhsa_system_sgpr_workgroup_id_x 1
		.amdhsa_system_sgpr_workgroup_id_y 0
		.amdhsa_system_sgpr_workgroup_id_z 0
		.amdhsa_system_sgpr_workgroup_info 0
		.amdhsa_system_vgpr_workitem_id 0
		.amdhsa_next_free_vgpr 121
		.amdhsa_next_free_sgpr 29
		.amdhsa_reserve_vcc 1
		.amdhsa_reserve_flat_scratch 0
		.amdhsa_float_round_mode_32 0
		.amdhsa_float_round_mode_16_64 0
		.amdhsa_float_denorm_mode_32 3
		.amdhsa_float_denorm_mode_16_64 3
		.amdhsa_dx10_clamp 1
		.amdhsa_ieee_mode 1
		.amdhsa_fp16_overflow 0
		.amdhsa_exception_fp_ieee_invalid_op 0
		.amdhsa_exception_fp_denorm_src 0
		.amdhsa_exception_fp_ieee_div_zero 0
		.amdhsa_exception_fp_ieee_overflow 0
		.amdhsa_exception_fp_ieee_underflow 0
		.amdhsa_exception_fp_ieee_inexact 0
		.amdhsa_exception_int_div_zero 0
	.end_amdhsa_kernel
	.text
.Lfunc_end0:
	.size	bluestein_single_fwd_len231_dim1_half_op_CI_CI, .Lfunc_end0-bluestein_single_fwd_len231_dim1_half_op_CI_CI
                                        ; -- End function
	.section	.AMDGPU.csdata,"",@progbits
; Kernel info:
; codeLenInByte = 15412
; NumSgprs: 33
; NumVgprs: 121
; ScratchSize: 0
; MemoryBound: 0
; FloatMode: 240
; IeeeMode: 1
; LDSByteSize: 6468 bytes/workgroup (compile time only)
; SGPRBlocks: 4
; VGPRBlocks: 30
; NumSGPRsForWavesPerEU: 33
; NumVGPRsForWavesPerEU: 121
; Occupancy: 2
; WaveLimiterHint : 1
; COMPUTE_PGM_RSRC2:SCRATCH_EN: 0
; COMPUTE_PGM_RSRC2:USER_SGPR: 6
; COMPUTE_PGM_RSRC2:TRAP_HANDLER: 0
; COMPUTE_PGM_RSRC2:TGID_X_EN: 1
; COMPUTE_PGM_RSRC2:TGID_Y_EN: 0
; COMPUTE_PGM_RSRC2:TGID_Z_EN: 0
; COMPUTE_PGM_RSRC2:TIDIG_COMP_CNT: 0
	.type	__hip_cuid_773d8f7770ba2955,@object ; @__hip_cuid_773d8f7770ba2955
	.section	.bss,"aw",@nobits
	.globl	__hip_cuid_773d8f7770ba2955
__hip_cuid_773d8f7770ba2955:
	.byte	0                               ; 0x0
	.size	__hip_cuid_773d8f7770ba2955, 1

	.ident	"AMD clang version 19.0.0git (https://github.com/RadeonOpenCompute/llvm-project roc-6.4.0 25133 c7fe45cf4b819c5991fe208aaa96edf142730f1d)"
	.section	".note.GNU-stack","",@progbits
	.addrsig
	.addrsig_sym __hip_cuid_773d8f7770ba2955
	.amdgpu_metadata
---
amdhsa.kernels:
  - .args:
      - .actual_access:  read_only
        .address_space:  global
        .offset:         0
        .size:           8
        .value_kind:     global_buffer
      - .actual_access:  read_only
        .address_space:  global
        .offset:         8
        .size:           8
        .value_kind:     global_buffer
      - .actual_access:  read_only
        .address_space:  global
        .offset:         16
        .size:           8
        .value_kind:     global_buffer
      - .actual_access:  read_only
        .address_space:  global
        .offset:         24
        .size:           8
        .value_kind:     global_buffer
      - .actual_access:  read_only
        .address_space:  global
        .offset:         32
        .size:           8
        .value_kind:     global_buffer
      - .offset:         40
        .size:           8
        .value_kind:     by_value
      - .address_space:  global
        .offset:         48
        .size:           8
        .value_kind:     global_buffer
      - .address_space:  global
        .offset:         56
        .size:           8
        .value_kind:     global_buffer
      - .address_space:  global
        .offset:         64
        .size:           8
        .value_kind:     global_buffer
      - .address_space:  global
        .offset:         72
        .size:           8
        .value_kind:     global_buffer
      - .offset:         80
        .size:           4
        .value_kind:     by_value
      - .address_space:  global
        .offset:         88
        .size:           8
        .value_kind:     global_buffer
      - .address_space:  global
        .offset:         96
        .size:           8
        .value_kind:     global_buffer
    .group_segment_fixed_size: 6468
    .kernarg_segment_align: 8
    .kernarg_segment_size: 104
    .language:       OpenCL C
    .language_version:
      - 2
      - 0
    .max_flat_workgroup_size: 231
    .name:           bluestein_single_fwd_len231_dim1_half_op_CI_CI
    .private_segment_fixed_size: 0
    .sgpr_count:     33
    .sgpr_spill_count: 0
    .symbol:         bluestein_single_fwd_len231_dim1_half_op_CI_CI.kd
    .uniform_work_group_size: 1
    .uses_dynamic_stack: false
    .vgpr_count:     121
    .vgpr_spill_count: 0
    .wavefront_size: 64
amdhsa.target:   amdgcn-amd-amdhsa--gfx906
amdhsa.version:
  - 1
  - 2
...

	.end_amdgpu_metadata
